;; amdgpu-corpus repo=ROCm/rocFFT kind=compiled arch=gfx1100 opt=O3
	.text
	.amdgcn_target "amdgcn-amd-amdhsa--gfx1100"
	.amdhsa_code_object_version 6
	.protected	bluestein_single_back_len480_dim1_half_op_CI_CI ; -- Begin function bluestein_single_back_len480_dim1_half_op_CI_CI
	.globl	bluestein_single_back_len480_dim1_half_op_CI_CI
	.p2align	8
	.type	bluestein_single_back_len480_dim1_half_op_CI_CI,@function
bluestein_single_back_len480_dim1_half_op_CI_CI: ; @bluestein_single_back_len480_dim1_half_op_CI_CI
; %bb.0:
	s_load_b128 s[16:19], s[0:1], 0x28
	v_lshrrev_b32_e32 v2, 4, v0
	v_mov_b32_e32 v1, 0
	s_mov_b32 s2, exec_lo
	s_delay_alu instid0(VALU_DEP_2) | instskip(NEXT) | instid1(VALU_DEP_2)
	v_lshl_or_b32 v48, s15, 2, v2
	v_mov_b32_e32 v49, v1
	s_waitcnt lgkmcnt(0)
	s_delay_alu instid0(VALU_DEP_1)
	v_cmpx_gt_u64_e64 s[16:17], v[48:49]
	s_cbranch_execz .LBB0_10
; %bb.1:
	s_clause 0x1
	s_load_b128 s[4:7], s[0:1], 0x18
	s_load_b128 s[8:11], s[0:1], 0x0
	v_mul_u32_u24_e32 v144, 0x1e0, v2
	s_waitcnt lgkmcnt(0)
	s_load_b128 s[12:15], s[4:5], 0x0
	s_waitcnt lgkmcnt(0)
	v_mad_u64_u32 v[3:4], null, s14, v48, 0
	v_and_b32_e32 v121, 15, v0
	s_mul_i32 s2, s13, 0xc0
	s_mul_hi_u32 s3, s12, 0xc0
	s_mul_i32 s4, s12, 0xc0
	s_add_i32 s3, s3, s2
	s_mul_i32 s2, s13, 0xfffff980
	s_delay_alu instid0(VALU_DEP_2) | instskip(SKIP_4) | instid1(VALU_DEP_3)
	v_mov_b32_e32 v0, v4
	v_mad_u64_u32 v[5:6], null, s12, v121, 0
	v_lshlrev_b32_e32 v63, 2, v121
	v_or_b32_e32 v2, v144, v121
	s_sub_i32 s2, s2, s12
	v_mov_b32_e32 v4, v6
	v_mad_u64_u32 v[6:7], null, s15, v48, v[0:1]
	s_clause 0x9
	global_load_b32 v127, v63, s[8:9]
	global_load_b32 v112, v63, s[8:9] offset:64
	global_load_b32 v110, v63, s[8:9] offset:256
	;; [unrolled: 1-line block ×9, first 2 shown]
	v_mad_u64_u32 v[7:8], null, s13, v121, v[4:5]
	v_lshlrev_b32_e32 v143, 2, v2
	s_clause 0x3
	global_load_b32 v131, v63, s[8:9] offset:384
	global_load_b32 v92, v63, s[8:9] offset:320
	;; [unrolled: 1-line block ×4, first 2 shown]
	v_mov_b32_e32 v4, v6
	s_clause 0x7
	global_load_b32 v125, v63, s[8:9] offset:960
	global_load_b32 v86, v63, s[8:9] offset:896
	global_load_b32 v129, v63, s[8:9] offset:768
	global_load_b32 v88, v63, s[8:9] offset:704
	global_load_b32 v132, v63, s[8:9] offset:576
	global_load_b32 v90, v63, s[8:9] offset:512
	global_load_b32 v101, v63, s[8:9] offset:1408
	global_load_b32 v83, v63, s[8:9] offset:1472
	v_mov_b32_e32 v6, v7
	v_lshlrev_b64 v[3:4], 2, v[3:4]
	s_clause 0x6
	global_load_b32 v123, v63, s[8:9] offset:1344
	global_load_b32 v84, v63, s[8:9] offset:1280
	;; [unrolled: 1-line block ×7, first 2 shown]
	v_lshl_or_b32 v114, v144, 2, v63
	v_lshlrev_b64 v[5:6], 2, v[5:6]
	v_add_co_u32 v0, vcc_lo, s18, v3
	v_add_co_ci_u32_e32 v4, vcc_lo, s19, v4, vcc_lo
	s_delay_alu instid0(VALU_DEP_4) | instskip(NEXT) | instid1(VALU_DEP_3)
	v_add_nc_u32_e32 v2, 0x200, v114
	v_add_co_u32 v3, vcc_lo, v0, v5
	s_delay_alu instid0(VALU_DEP_3) | instskip(SKIP_1) | instid1(VALU_DEP_3)
	v_add_co_ci_u32_e32 v4, vcc_lo, v4, v6, vcc_lo
	v_add_nc_u32_e32 v36, 0x400, v114
	v_add_co_u32 v5, vcc_lo, v3, s4
	s_delay_alu instid0(VALU_DEP_3)
	v_add_co_ci_u32_e32 v6, vcc_lo, s3, v4, vcc_lo
	global_load_b32 v0, v[3:4], off
	v_add_co_u32 v3, vcc_lo, v5, s4
	v_add_co_ci_u32_e32 v4, vcc_lo, s3, v6, vcc_lo
	global_load_b32 v82, v63, s[8:9] offset:1664
	s_clause 0x1
	global_load_b32 v9, v[5:6], off
	global_load_b32 v10, v[3:4], off
	v_add_co_u32 v3, vcc_lo, v3, s4
	v_add_co_ci_u32_e32 v4, vcc_lo, s3, v4, vcc_lo
	s_delay_alu instid0(VALU_DEP_2) | instskip(NEXT) | instid1(VALU_DEP_2)
	v_add_co_u32 v5, vcc_lo, v3, s4
	v_add_co_ci_u32_e32 v6, vcc_lo, s3, v4, vcc_lo
	s_clause 0x1
	global_load_b32 v11, v[3:4], off
	global_load_b32 v12, v[5:6], off
	v_add_co_u32 v3, vcc_lo, v5, s4
	v_add_co_ci_u32_e32 v4, vcc_lo, s3, v6, vcc_lo
	s_delay_alu instid0(VALU_DEP_2) | instskip(NEXT) | instid1(VALU_DEP_2)
	v_add_co_u32 v5, vcc_lo, v3, s4
	v_add_co_ci_u32_e32 v6, vcc_lo, s3, v4, vcc_lo
	global_load_b32 v13, v[3:4], off
	v_add_co_u32 v3, vcc_lo, v5, s4
	v_add_co_ci_u32_e32 v4, vcc_lo, s3, v6, vcc_lo
	global_load_b32 v14, v[5:6], off
	;; [unrolled: 3-line block ×4, first 2 shown]
	v_mad_u64_u32 v[3:4], null, 0xfffff980, s12, v[7:8]
	global_load_b32 v17, v[7:8], off
	v_add_nc_u32_e32 v4, s2, v4
	v_add_co_u32 v5, vcc_lo, v3, s4
	s_delay_alu instid0(VALU_DEP_2)
	v_add_co_ci_u32_e32 v6, vcc_lo, s3, v4, vcc_lo
	global_load_b32 v18, v[3:4], off
	v_add_co_u32 v3, vcc_lo, v5, s4
	v_add_co_ci_u32_e32 v4, vcc_lo, s3, v6, vcc_lo
	global_load_b32 v19, v[5:6], off
	v_add_co_u32 v5, vcc_lo, v3, s4
	v_add_co_ci_u32_e32 v6, vcc_lo, s3, v4, vcc_lo
	global_load_b32 v20, v[3:4], off
	global_load_b32 v21, v[5:6], off
	v_add_co_u32 v3, vcc_lo, v5, s4
	v_add_co_ci_u32_e32 v4, vcc_lo, s3, v6, vcc_lo
	s_delay_alu instid0(VALU_DEP_2) | instskip(NEXT) | instid1(VALU_DEP_2)
	v_add_co_u32 v5, vcc_lo, v3, s4
	v_add_co_ci_u32_e32 v6, vcc_lo, s3, v4, vcc_lo
	global_load_b32 v22, v[3:4], off
	v_add_co_u32 v3, vcc_lo, v5, s4
	v_add_co_ci_u32_e32 v4, vcc_lo, s3, v6, vcc_lo
	global_load_b32 v23, v[5:6], off
	v_add_co_u32 v5, vcc_lo, v3, s4
	v_add_co_ci_u32_e32 v6, vcc_lo, s3, v4, vcc_lo
	global_load_b32 v24, v[3:4], off
	v_add_co_u32 v3, vcc_lo, v5, s4
	v_add_co_ci_u32_e32 v4, vcc_lo, s3, v6, vcc_lo
	global_load_b32 v25, v[5:6], off
	v_add_co_u32 v7, vcc_lo, v3, s4
	v_add_co_ci_u32_e32 v8, vcc_lo, s3, v4, vcc_lo
	s_delay_alu instid0(VALU_DEP_1) | instskip(SKIP_4) | instid1(VALU_DEP_2)
	v_mad_u64_u32 v[5:6], null, 0xfffff980, s12, v[7:8]
	global_load_b32 v26, v[3:4], off
	global_load_b32 v7, v[7:8], off
	v_add_nc_u32_e32 v6, s2, v6
	v_add_co_u32 v3, vcc_lo, v5, s4
	v_add_co_ci_u32_e32 v4, vcc_lo, s3, v6, vcc_lo
	global_load_b32 v8, v[5:6], off
	v_add_co_u32 v5, vcc_lo, v3, s4
	v_add_co_ci_u32_e32 v6, vcc_lo, s3, v4, vcc_lo
	global_load_b32 v27, v[3:4], off
	v_add_co_u32 v3, vcc_lo, v5, s4
	v_add_co_ci_u32_e32 v4, vcc_lo, s3, v6, vcc_lo
	global_load_b32 v28, v[5:6], off
	global_load_b32 v29, v[3:4], off
	v_add_co_u32 v3, vcc_lo, v3, s4
	v_add_co_ci_u32_e32 v4, vcc_lo, s3, v4, vcc_lo
	s_delay_alu instid0(VALU_DEP_2) | instskip(NEXT) | instid1(VALU_DEP_2)
	v_add_co_u32 v5, vcc_lo, v3, s4
	v_add_co_ci_u32_e32 v6, vcc_lo, s3, v4, vcc_lo
	global_load_b32 v30, v[3:4], off
	global_load_b32 v31, v[5:6], off
	v_add_co_u32 v3, vcc_lo, v5, s4
	v_add_co_ci_u32_e32 v4, vcc_lo, s3, v6, vcc_lo
	s_delay_alu instid0(VALU_DEP_2) | instskip(NEXT) | instid1(VALU_DEP_2)
	v_add_co_u32 v5, vcc_lo, v3, s4
	v_add_co_ci_u32_e32 v6, vcc_lo, s3, v4, vcc_lo
	global_load_b32 v32, v[3:4], off
	v_add_co_u32 v3, vcc_lo, v5, s4
	v_add_co_ci_u32_e32 v4, vcc_lo, s3, v6, vcc_lo
	global_load_b32 v33, v[5:6], off
	;; [unrolled: 3-line block ×3, first 2 shown]
	global_load_b32 v4, v[5:6], off
	s_load_b128 s[4:7], s[6:7], 0x0
	v_mul_u32_u24_e32 v5, 10, v121
	s_load_b64 s[2:3], s[0:1], 0x38
	s_delay_alu instid0(VALU_DEP_1)
	v_add_lshl_u32 v67, v144, v5, 2
	s_waitcnt vmcnt(59)
	v_lshrrev_b32_e32 v142, 16, v127
	s_waitcnt vmcnt(58)
	v_lshrrev_b32_e32 v128, 16, v112
	;; [unrolled: 2-line block ×8, first 2 shown]
	v_lshrrev_b32_e32 v115, 16, v99
	s_waitcnt vmcnt(49)
	v_lshrrev_b32_e32 v140, 16, v131
	s_waitcnt vmcnt(48)
	;; [unrolled: 2-line block ×4, first 2 shown]
	v_lshrrev_b32_e32 v138, 16, v129
	v_lshrrev_b32_e32 v137, 16, v125
	s_waitcnt vmcnt(41)
	v_lshrrev_b32_e32 v139, 16, v132
	s_waitcnt vmcnt(39)
	;; [unrolled: 2-line block ×3, first 2 shown]
	v_lshrrev_b32_e32 v134, 16, v123
	v_lshrrev_b32_e32 v107, 16, v93
	s_waitcnt vmcnt(35)
	v_lshrrev_b32_e32 v136, 16, v126
	s_waitcnt vmcnt(33)
	;; [unrolled: 2-line block ×3, first 2 shown]
	v_lshrrev_b32_e32 v109, 16, v98
	v_lshrrev_b32_e32 v103, 16, v90
	;; [unrolled: 1-line block ×8, first 2 shown]
	s_waitcnt vmcnt(31)
	v_lshrrev_b32_e32 v87, 16, v81
	s_waitcnt vmcnt(30)
	v_lshrrev_b32_e32 v6, 16, v0
	v_mul_f16_e64 v34, v142, v0
	s_waitcnt vmcnt(29)
	v_lshrrev_b32_e32 v89, 16, v82
	s_delay_alu instid0(VALU_DEP_3)
	v_mul_f16_e64 v35, v142, v6
	s_waitcnt vmcnt(28)
	v_lshrrev_b32_e32 v37, 16, v9
	v_fma_f16 v6, v127, v6, -v34
	v_mul_f16_e64 v34, v141, v9
	s_waitcnt vmcnt(27)
	v_lshrrev_b32_e32 v38, 16, v10
	v_fmac_f16_e32 v35, v127, v0
	v_mul_f16_e64 v0, v141, v37
	v_mul_f16_e64 v39, v140, v10
	v_fma_f16 v34, v135, v37, -v34
	s_delay_alu instid0(VALU_DEP_4) | instskip(NEXT) | instid1(VALU_DEP_4)
	v_pack_b32_f16 v6, v35, v6
	v_fmac_f16_e64 v0, v135, v9
	v_mul_f16_e64 v9, v140, v38
	s_waitcnt vmcnt(26)
	v_lshrrev_b32_e32 v37, 16, v11
	v_fma_f16 v35, v131, v38, -v39
	v_mul_f16_e64 v38, v139, v11
	ds_store_b32 v143, v6
	v_fmac_f16_e64 v9, v131, v10
	v_mul_f16_e64 v6, v139, v37
	s_waitcnt vmcnt(25)
	v_lshrrev_b32_e32 v10, 16, v12
	v_pack_b32_f16 v0, v0, v34
	v_fma_f16 v34, v132, v37, -v38
	v_mul_f16_e64 v37, v138, v12
	v_pack_b32_f16 v9, v9, v35
	v_fmac_f16_e64 v6, v132, v11
	v_mul_f16_e64 v11, v138, v10
	s_waitcnt vmcnt(24)
	v_lshrrev_b32_e32 v35, 16, v13
	v_fma_f16 v10, v129, v10, -v37
	v_mul_f16_e64 v37, v137, v13
	v_pack_b32_f16 v6, v6, v34
	v_fmac_f16_e64 v11, v129, v12
	v_mul_f16_e64 v12, v137, v35
	s_waitcnt vmcnt(23)
	v_lshrrev_b32_e32 v34, 16, v14
	v_fma_f16 v35, v125, v35, -v37
	v_mul_f16_e64 v37, v136, v14
	v_pack_b32_f16 v10, v11, v10
	v_fmac_f16_e32 v12, v125, v13
	v_mul_f16_e64 v11, v136, v34
	s_waitcnt vmcnt(22)
	v_lshrrev_b32_e32 v13, 16, v15
	v_fma_f16 v34, v126, v34, -v37
	v_mul_f16_e64 v37, v134, v15
	v_pack_b32_f16 v12, v12, v35
	v_fmac_f16_e32 v11, v126, v14
	v_mul_f16_e64 v14, v134, v13
	s_waitcnt vmcnt(21)
	v_lshrrev_b32_e32 v35, 16, v16
	v_fma_f16 v13, v123, v13, -v37
	v_mul_f16_e64 v37, v133, v16
	v_pack_b32_f16 v11, v11, v34
	s_waitcnt vmcnt(20)
	v_lshrrev_b32_e32 v34, 16, v17
	v_fmac_f16_e32 v14, v123, v15
	v_mul_f16_e64 v38, v133, v35
	v_fma_f16 v15, v117, v35, -v37
	v_mul_f16_e64 v35, v130, v17
	v_mul_f16_e64 v37, v130, v34
	v_pack_b32_f16 v13, v14, v13
	v_fmac_f16_e32 v38, v117, v16
	s_waitcnt vmcnt(19)
	v_lshrrev_b32_e32 v14, 16, v18
	v_fma_f16 v16, v119, v34, -v35
	v_fmac_f16_e32 v37, v119, v17
	v_mul_f16_e64 v17, v128, v18
	v_pack_b32_f16 v15, v38, v15
	v_mul_f16_e64 v34, v128, v14
	s_waitcnt vmcnt(18)
	v_lshrrev_b32_e32 v35, 16, v19
	v_pack_b32_f16 v16, v37, v16
	v_mul_f16_e32 v37, v124, v19
	v_fma_f16 v14, v112, v14, -v17
	v_fmac_f16_e32 v34, v112, v18
	v_mul_f16_e32 v17, v124, v35
	s_waitcnt vmcnt(17)
	v_lshrrev_b32_e32 v18, 16, v20
	v_fma_f16 v35, v110, v35, -v37
	v_mul_f16_e32 v37, v122, v20
	v_pack_b32_f16 v14, v34, v14
	v_fmac_f16_e32 v17, v110, v19
	v_mul_f16_e32 v19, v122, v18
	s_waitcnt vmcnt(16)
	v_lshrrev_b32_e32 v34, 16, v21
	v_fma_f16 v18, v108, v18, -v37
	v_mul_f16_e32 v38, v120, v21
	v_pack_b32_f16 v17, v17, v35
	v_fmac_f16_e32 v19, v108, v20
	s_waitcnt vmcnt(15)
	v_lshrrev_b32_e32 v35, 16, v22
	v_mul_f16_e32 v20, v120, v34
	v_fma_f16 v34, v106, v34, -v38
	ds_store_2addr_b32 v114, v0, v17 offset0:48 offset1:64
	v_pack_b32_f16 v0, v19, v18
	v_mul_f16_e32 v17, v118, v35
	s_waitcnt vmcnt(14)
	v_lshrrev_b32_e32 v18, 16, v23
	v_mul_f16_e32 v37, v118, v22
	v_fmac_f16_e32 v20, v106, v21
	v_mul_f16_e32 v19, v116, v23
	v_fmac_f16_e32 v17, v104, v22
	v_mul_f16_e32 v22, v116, v18
	v_fma_f16 v21, v104, v35, -v37
	v_pack_b32_f16 v20, v20, v34
	v_fma_f16 v18, v102, v18, -v19
	s_waitcnt vmcnt(13)
	v_lshrrev_b32_e32 v19, 16, v24
	v_fmac_f16_e32 v22, v102, v23
	v_mul_f16_e32 v34, v115, v24
	ds_store_2addr_b32 v114, v6, v20 offset0:144 offset1:160
	v_pack_b32_f16 v6, v17, v21
	v_mul_f16_e32 v17, v115, v19
	s_waitcnt vmcnt(12)
	v_lshrrev_b32_e32 v20, 16, v25
	v_pack_b32_f16 v18, v22, v18
	v_mul_f16_e32 v21, v113, v25
	v_fma_f16 v19, v99, v19, -v34
	v_fmac_f16_e32 v17, v99, v24
	v_mul_f16_e32 v22, v113, v20
	ds_store_2addr_b32 v2, v12, v18 offset0:112 offset1:128
	s_waitcnt vmcnt(10)
	v_lshrrev_b32_e32 v12, 16, v7
	v_fma_f16 v20, v101, v20, -v21
	v_pack_b32_f16 v17, v17, v19
	v_fmac_f16_e32 v22, v101, v25
	v_mul_f16_e32 v19, v109, v7
	v_mul_f16_e32 v24, v109, v12
	v_lshrrev_b32_e32 v21, 16, v26
	v_mul_f16_e32 v23, v111, v26
	v_pack_b32_f16 v20, v22, v20
	v_fma_f16 v12, v98, v12, -v19
	v_fmac_f16_e32 v24, v98, v7
	s_waitcnt vmcnt(9)
	v_lshrrev_b32_e32 v7, 16, v8
	v_mul_f16_e32 v18, v111, v21
	ds_store_2addr_b32 v36, v13, v20 offset0:80 offset1:96
	v_mul_f16_e32 v13, v107, v8
	v_pack_b32_f16 v12, v24, v12
	v_mul_f16_e32 v19, v107, v7
	s_waitcnt vmcnt(8)
	v_lshrrev_b32_e32 v20, 16, v27
	v_fma_f16 v21, v96, v21, -v23
	v_fma_f16 v7, v93, v7, -v13
	v_mul_f16_e32 v13, v105, v27
	ds_store_2addr_b32 v36, v16, v12 offset0:176 offset1:192
	v_fmac_f16_e32 v19, v93, v8
	v_mul_f16_e32 v8, v105, v20
	s_waitcnt vmcnt(7)
	v_lshrrev_b32_e32 v12, 16, v28
	v_mul_f16_e32 v16, v103, v28
	v_fma_f16 v13, v92, v20, -v13
	v_pack_b32_f16 v7, v19, v7
	v_fmac_f16_e32 v8, v92, v27
	v_mul_f16_e32 v19, v103, v12
	v_fma_f16 v12, v90, v12, -v16
	s_waitcnt vmcnt(6)
	v_lshrrev_b32_e32 v16, 16, v29
	v_mul_f16_e32 v20, v100, v29
	ds_store_2addr_b32 v114, v14, v7 offset0:16 offset1:32
	v_pack_b32_f16 v7, v8, v13
	v_fmac_f16_e32 v19, v90, v28
	v_mul_f16_e32 v8, v100, v16
	s_waitcnt vmcnt(5)
	v_lshrrev_b32_e32 v14, 16, v30
	v_fma_f16 v13, v88, v16, -v20
	v_mul_f16_e32 v16, v97, v30
	ds_store_2addr_b32 v114, v7, v9 offset0:80 offset1:96
	v_pack_b32_f16 v7, v19, v12
	v_fmac_f16_e32 v8, v88, v29
	v_mul_f16_e32 v9, v97, v14
	v_fma_f16 v12, v86, v14, -v16
	s_waitcnt vmcnt(4)
	v_lshrrev_b32_e32 v14, 16, v31
	v_mul_f16_e32 v16, v95, v31
	ds_store_2addr_b32 v114, v0, v7 offset0:112 offset1:128
	v_pack_b32_f16 v0, v8, v13
	v_fmac_f16_e32 v9, v86, v30
	v_mul_f16_e32 v7, v95, v14
	v_fma_f16 v8, v85, v14, -v16
	s_waitcnt vmcnt(3)
	v_lshrrev_b32_e32 v13, 16, v32
	v_mul_f16_e32 v14, v94, v32
	ds_store_2addr_b32 v114, v0, v10 offset0:176 offset1:192
	v_pack_b32_f16 v0, v9, v12
	s_waitcnt vmcnt(2)
	v_lshrrev_b32_e32 v12, 16, v33
	v_mul_f16_e32 v9, v94, v13
	v_fma_f16 v10, v84, v13, -v14
	v_mul_f16_e32 v13, v91, v33
	ds_store_2addr_b32 v114, v6, v0 offset0:208 offset1:224
	s_waitcnt vmcnt(1)
	v_lshrrev_b32_e32 v0, 16, v3
	s_waitcnt vmcnt(0)
	v_lshrrev_b32_e32 v14, 16, v4
	v_mul_f16_e32 v6, v91, v12
	v_fma_f16 v12, v83, v12, -v13
	v_mul_f16_e32 v13, v89, v3
	v_mul_f16_e32 v16, v89, v0
	;; [unrolled: 1-line block ×4, first 2 shown]
	v_fmac_f16_e32 v7, v85, v31
	v_fmac_f16_e32 v9, v84, v32
	;; [unrolled: 1-line block ×4, first 2 shown]
	v_fma_f16 v0, v82, v0, -v13
	v_fmac_f16_e32 v16, v82, v3
	v_fma_f16 v3, v81, v14, -v19
	v_fmac_f16_e32 v20, v81, v4
	v_pack_b32_f16 v4, v7, v8
	v_pack_b32_f16 v7, v9, v10
	;; [unrolled: 1-line block ×6, first 2 shown]
	ds_store_2addr_b32 v36, v4, v11 offset0:16 offset1:32
	ds_store_2addr_b32 v36, v17, v7 offset0:48 offset1:64
	;; [unrolled: 1-line block ×4, first 2 shown]
	ds_store_b32 v114, v3 offset:1856
	s_waitcnt lgkmcnt(0)
	s_barrier
	buffer_gl0_inv
	ds_load_2addr_b32 v[17:18], v114 offset0:208 offset1:224
	ds_load_2addr_b32 v[14:15], v36 offset0:48 offset1:64
	;; [unrolled: 1-line block ×9, first 2 shown]
	ds_load_b32 v16, v114 offset:1856
	ds_load_b32 v0, v143
	ds_load_2addr_b32 v[8:9], v114 offset0:48 offset1:64
	ds_load_2addr_b32 v[10:11], v114 offset0:144 offset1:160
	;; [unrolled: 1-line block ×5, first 2 shown]
	v_or_b32_e32 v38, 16, v121
	v_or_b32_e32 v37, 32, v121
	s_waitcnt lgkmcnt(0)
	s_barrier
	buffer_gl0_inv
	v_lshrrev_b32_e32 v45, 16, v30
	v_lshrrev_b32_e32 v59, 16, v19
	;; [unrolled: 1-line block ×4, first 2 shown]
	v_add_f16_e32 v47, v33, v39
	v_lshrrev_b32_e32 v50, 16, v16
	v_lshrrev_b32_e32 v52, 16, v39
	;; [unrolled: 1-line block ×3, first 2 shown]
	v_add_f16_e32 v21, v18, v15
	v_lshrrev_b32_e32 v24, 16, v23
	v_lshrrev_b32_e32 v25, 16, v13
	;; [unrolled: 1-line block ×3, first 2 shown]
	v_sub_f16_e32 v28, v13, v15
	v_sub_f16_e32 v35, v23, v18
	v_add_f16_e32 v41, v23, v13
	v_sub_f16_e32 v42, v15, v13
	v_sub_f16_e32 v43, v18, v23
	v_pk_add_f16 v44, v30, v23
	v_add_f16_e32 v55, v31, v16
	v_pk_add_f16 v58, v19, v31
	v_sub_f16_e32 v46, v18, v15
	v_sub_f16_e32 v53, v16, v39
	;; [unrolled: 1-line block ×6, first 2 shown]
	v_add_f16_e32 v61, v32, v34
	v_lshrrev_b32_e32 v62, 16, v20
	v_lshrrev_b32_e32 v69, 16, v32
	;; [unrolled: 1-line block ×3, first 2 shown]
	v_sub_f16_e32 v65, v20, v32
	v_add_f16_e32 v66, v20, v40
	v_sub_f16_e32 v71, v32, v20
	v_pk_add_f16 v73, v0, v20
	v_sub_f16_e32 v75, v20, v40
	v_fma_f16 v21, -0.5, v21, v30
	v_sub_f16_e32 v20, v24, v25
	v_sub_f16_e32 v76, v26, v27
	v_add_f16_e32 v28, v35, v28
	v_fma_f16 v30, -0.5, v41, v30
	v_add_f16_e32 v35, v43, v42
	v_pk_add_f16 v18, v44, v18
	v_add_f16_e32 v41, v26, v27
	v_sub_f16_e32 v43, v25, v27
	v_add_f16_e32 v44, v24, v25
	v_sub_f16_e32 v25, v27, v25
	v_fma_f16 v27, -0.5, v47, v19
	v_fma_f16 v19, -0.5, v55, v19
	v_pk_add_f16 v33, v58, v33
	v_add_f16_e32 v55, v51, v52
	v_add_f16_e32 v58, v49, v50
	v_lshrrev_b32_e32 v74, 16, v0
	v_sub_f16_e32 v42, v24, v26
	v_sub_f16_e32 v24, v26, v24
	;; [unrolled: 1-line block ×4, first 2 shown]
	v_add_f16_e32 v53, v54, v53
	v_add_f16_e32 v54, v57, v56
	v_sub_f16_e32 v56, v49, v51
	v_sub_f16_e32 v49, v51, v49
	v_fma_f16 v51, -0.5, v61, v0
	v_fma_f16 v77, -0.5, v66, v0
	v_add_f16_e32 v0, v69, v72
	v_pk_add_f16 v15, v18, v15
	v_pk_add_f16 v33, v33, v39
	v_fma_f16 v39, -0.5, v55, v59
	v_fmac_f16_e32 v59, -0.5, v58
	v_sub_f16_e32 v23, v23, v13
	v_sub_f16_e32 v31, v31, v16
	v_sub_f16_e32 v57, v50, v52
	v_sub_f16_e32 v50, v52, v50
	v_fma_f16 v41, -0.5, v41, v45
	v_add_f16_e32 v18, v42, v43
	v_fmac_f16_e32 v45, -0.5, v44
	v_add_f16_e32 v24, v24, v25
	v_fmamk_f16 v25, v26, 0x3b9c, v27
	v_fmac_f16_e32 v27, 0xbb9c, v26
	v_fmamk_f16 v42, v47, 0xbb9c, v19
	v_fmac_f16_e32 v19, 0x3b9c, v47
	v_fma_f16 v55, -0.5, v0, v74
	v_pk_add_f16 v0, v15, v13
	v_pk_add_f16 v13, v33, v16
	v_fmamk_f16 v16, v60, 0x3b9c, v59
	v_sub_f16_e32 v64, v40, v34
	v_sub_f16_e32 v70, v34, v40
	v_add_f16_e32 v43, v56, v57
	v_add_f16_e32 v44, v49, v50
	v_fmamk_f16 v56, v23, 0xbb9c, v41
	v_fmac_f16_e32 v41, 0x3b9c, v23
	v_fmamk_f16 v57, v46, 0x3b9c, v45
	v_fmac_f16_e32 v45, 0xbb9c, v46
	v_fmac_f16_e32 v25, 0x38b4, v47
	;; [unrolled: 1-line block ×5, first 2 shown]
	v_fmamk_f16 v15, v31, 0xbb9c, v39
	v_fmac_f16_e32 v39, 0x3b9c, v31
	v_fmac_f16_e32 v59, 0xbb9c, v60
	;; [unrolled: 1-line block ×3, first 2 shown]
	v_add_f16_e32 v64, v65, v64
	v_add_f16_e32 v78, v71, v70
	v_fmamk_f16 v65, v20, 0x3b9c, v21
	v_fmac_f16_e32 v21, 0xbb9c, v20
	v_fmamk_f16 v70, v76, 0xbb9c, v30
	v_fmac_f16_e32 v30, 0x3b9c, v76
	v_fmac_f16_e32 v56, 0xb8b4, v46
	;; [unrolled: 1-line block ×13, first 2 shown]
	v_lshrrev_b32_e32 v68, 16, v40
	v_fmac_f16_e32 v65, 0x38b4, v76
	v_fmac_f16_e32 v21, 0xb8b4, v76
	;; [unrolled: 1-line block ×11, first 2 shown]
	v_mul_f16_e32 v18, 0x3a79, v25
	v_mul_f16_e32 v20, 0x34f2, v19
	;; [unrolled: 1-line block ×5, first 2 shown]
	v_sub_f16_e32 v52, v62, v68
	v_fmac_f16_e32 v65, 0x34f2, v28
	v_fmac_f16_e32 v21, 0x34f2, v28
	;; [unrolled: 1-line block ×4, first 2 shown]
	v_mul_f16_e32 v28, 0xb8b4, v25
	v_fmac_f16_e32 v18, 0x38b4, v15
	v_fma_f16 v20, v59, 0x3b9c, -v20
	v_fma_f16 v35, v39, 0x38b4, -v24
	v_fmac_f16_e32 v31, 0x34f2, v16
	v_mul_f16_e32 v43, 0x34f2, v59
	v_mul_f16_e32 v39, 0x3a79, v39
	v_fmac_f16_e32 v33, 0x34f2, v42
	v_sub_f16_e32 v61, v69, v72
	v_pk_add_f16 v73, v73, v32
	v_fmamk_f16 v49, v52, 0x3b9c, v51
	v_fmac_f16_e32 v51, 0xbb9c, v52
	v_fmac_f16_e32 v28, 0x3a79, v15
	v_add_f16_e32 v15, v65, v18
	v_add_f16_e32 v24, v30, v20
	;; [unrolled: 1-line block ×3, first 2 shown]
	v_fma_f16 v42, v19, 0xbb9c, -v43
	v_fma_f16 v39, v27, 0xb8b4, -v39
	v_sub_f16_e32 v18, v65, v18
	v_sub_f16_e32 v20, v30, v20
	v_sub_f16_e32 v65, v57, v31
	v_add_f16_e32 v27, v70, v33
	v_sub_f16_e32 v19, v70, v33
	v_fmamk_f16 v30, v75, 0xbb9c, v55
	v_sub_f16_e32 v31, v32, v34
	v_sub_f16_e32 v32, v62, v69
	;; [unrolled: 1-line block ×3, first 2 shown]
	v_fmac_f16_e32 v55, 0x3b9c, v75
	v_fmac_f16_e32 v49, 0x38b4, v61
	;; [unrolled: 1-line block ×3, first 2 shown]
	v_add_f16_e32 v16, v21, v35
	v_sub_f16_e32 v21, v21, v35
	v_add_f16_e32 v35, v62, v68
	v_pk_add_f16 v34, v73, v34
	v_fmac_f16_e32 v30, 0xb8b4, v31
	v_add_f16_e32 v32, v32, v33
	v_fmac_f16_e32 v55, 0x38b4, v31
	v_fmac_f16_e32 v49, 0x34f2, v64
	;; [unrolled: 1-line block ×3, first 2 shown]
	v_add_f16_e32 v64, v41, v39
	v_sub_f16_e32 v70, v41, v39
	v_fmac_f16_e32 v74, -0.5, v35
	v_pk_add_f16 v33, v34, v40
	v_fmac_f16_e32 v30, 0x34f2, v32
	v_fmac_f16_e32 v55, 0x34f2, v32
	v_add_f16_e32 v32, v6, v4
	v_lshrrev_b32_e32 v35, 16, v10
	v_lshrrev_b32_e32 v39, 16, v2
	v_sub_f16_e32 v40, v69, v62
	v_sub_f16_e32 v41, v72, v68
	v_fmamk_f16 v50, v61, 0xbb9c, v77
	v_fmac_f16_e32 v77, 0x3b9c, v61
	v_add_f16_e32 v26, v56, v28
	v_sub_f16_e32 v66, v56, v28
	v_add_f16_e32 v28, v45, v42
	v_sub_f16_e32 v71, v45, v42
	v_fmamk_f16 v34, v31, 0x3b9c, v74
	v_fma_f16 v32, -0.5, v32, v8
	v_sub_f16_e32 v42, v35, v39
	v_lshrrev_b32_e32 v43, 16, v6
	v_lshrrev_b32_e32 v44, 16, v4
	v_add_f16_e32 v40, v40, v41
	v_fmac_f16_e32 v74, 0xbb9c, v31
	v_add_f16_e32 v41, v10, v2
	v_fmac_f16_e32 v50, 0x38b4, v52
	v_fmac_f16_e32 v77, 0xb8b4, v52
	;; [unrolled: 1-line block ×3, first 2 shown]
	v_fmamk_f16 v31, v42, 0x3b9c, v32
	v_sub_f16_e32 v45, v43, v44
	v_sub_f16_e32 v46, v2, v4
	;; [unrolled: 1-line block ×3, first 2 shown]
	v_fma_f16 v41, -0.5, v41, v8
	v_fmac_f16_e32 v74, 0x38b4, v75
	v_fmac_f16_e32 v32, 0xbb9c, v42
	v_sub_f16_e32 v52, v4, v2
	v_sub_f16_e32 v53, v6, v10
	v_fmac_f16_e32 v34, 0x34f2, v40
	v_fmac_f16_e32 v31, 0x38b4, v45
	v_add_f16_e32 v46, v47, v46
	v_fmamk_f16 v47, v45, 0xbb9c, v41
	v_fmac_f16_e32 v74, 0x34f2, v40
	v_fmac_f16_e32 v32, 0xb8b4, v45
	v_add_f16_e32 v40, v53, v52
	v_fmac_f16_e32 v41, 0x3b9c, v45
	v_add_f16_e32 v45, v43, v44
	v_lshrrev_b32_e32 v52, 16, v8
	v_fmac_f16_e32 v31, 0x34f2, v46
	v_fmac_f16_e32 v47, 0x38b4, v42
	;; [unrolled: 1-line block ×3, first 2 shown]
	v_add_f16_e32 v46, v35, v39
	v_fmac_f16_e32 v41, 0xb8b4, v42
	v_fma_f16 v42, -0.5, v45, v52
	v_sub_f16_e32 v45, v10, v2
	v_fmac_f16_e32 v47, 0x34f2, v40
	v_sub_f16_e32 v53, v6, v4
	v_fmac_f16_e32 v52, -0.5, v46
	v_fmac_f16_e32 v41, 0x34f2, v40
	v_pk_add_f16 v8, v8, v10
	v_fmamk_f16 v10, v45, 0xbb9c, v42
	v_sub_f16_e32 v40, v35, v43
	v_sub_f16_e32 v35, v43, v35
	;; [unrolled: 1-line block ×4, first 2 shown]
	v_fmamk_f16 v46, v53, 0x3b9c, v52
	v_fmac_f16_e32 v10, 0xb8b4, v53
	v_fmac_f16_e32 v52, 0xbb9c, v53
	;; [unrolled: 1-line block ×3, first 2 shown]
	v_add_f16_e32 v39, v40, v39
	v_fmac_f16_e32 v46, 0xb8b4, v45
	v_add_f16_e32 v35, v35, v43
	v_fmac_f16_e32 v52, 0x38b4, v45
	v_pk_add_f16 v6, v8, v6
	v_fmac_f16_e32 v10, 0x34f2, v39
	v_fmac_f16_e32 v42, 0x38b4, v53
	v_mul_f16_e32 v8, 0x3a79, v31
	v_fmac_f16_e32 v46, 0x34f2, v35
	v_fmac_f16_e32 v52, 0x34f2, v35
	v_mul_f16_e32 v40, 0x34f2, v41
	v_pk_add_f16 v4, v6, v4
	v_fmac_f16_e32 v42, 0x34f2, v39
	v_fmac_f16_e32 v8, 0x38b4, v10
	v_mul_f16_e32 v39, 0x3a79, v32
	v_mul_f16_e32 v35, 0x3b9c, v46
	v_fma_f16 v6, v52, 0x3b9c, -v40
	v_pk_add_f16 v4, v4, v2
	v_add_f16_e32 v40, v49, v8
	v_fma_f16 v39, v42, 0x38b4, -v39
	v_mul_f16_e32 v31, 0xb8b4, v31
	v_mul_f16_e32 v45, 0xbb9c, v47
	;; [unrolled: 1-line block ×4, first 2 shown]
	v_sub_f16_e32 v49, v49, v8
	v_add_f16_e32 v8, v17, v14
	v_lshrrev_b32_e32 v53, 16, v22
	v_lshrrev_b32_e32 v54, 16, v12
	v_fmac_f16_e32 v50, 0x34f2, v78
	v_fmac_f16_e32 v77, 0x34f2, v78
	;; [unrolled: 1-line block ×3, first 2 shown]
	v_add_f16_e32 v47, v51, v39
	v_fmac_f16_e32 v31, 0x3a79, v10
	v_fmac_f16_e32 v45, 0x34f2, v46
	v_fma_f16 v10, v41, 0xbb9c, -v2
	v_fma_f16 v32, v32, 0xb8b4, -v42
	v_sub_f16_e32 v39, v51, v39
	v_fma_f16 v8, -0.5, v8, v29
	v_sub_f16_e32 v51, v53, v54
	v_lshrrev_b32_e32 v56, 16, v17
	v_lshrrev_b32_e32 v57, 16, v14
	v_add_f16_e32 v59, v22, v12
	v_add_f16_e32 v43, v50, v35
	;; [unrolled: 1-line block ×7, first 2 shown]
	v_sub_f16_e32 v35, v50, v35
	v_sub_f16_e32 v50, v77, v6
	;; [unrolled: 1-line block ×5, first 2 shown]
	v_fmamk_f16 v10, v51, 0x3b9c, v8
	v_sub_f16_e32 v45, v56, v57
	v_sub_f16_e32 v6, v12, v14
	;; [unrolled: 1-line block ×4, first 2 shown]
	v_mul_u32_u24_e32 v55, 10, v38
	v_fma_f16 v59, -0.5, v59, v29
	v_fmac_f16_e32 v8, 0xbb9c, v51
	v_add_f16_e32 v60, v56, v57
	v_lshrrev_b32_e32 v61, 16, v29
	v_pk_add_f16 v2, v33, v4
	v_fmac_f16_e32 v10, 0x38b4, v45
	v_add_f16_e32 v58, v58, v6
	v_pk_add_f16 v6, v33, v4 neg_lo:[0,1] neg_hi:[0,1]
	v_add_lshl_u32 v68, v144, v55, 2
	v_fmamk_f16 v33, v45, 0xbb9c, v59
	v_sub_f16_e32 v4, v14, v12
	v_sub_f16_e32 v55, v17, v22
	v_fmac_f16_e32 v8, 0xb8b4, v45
	v_fmac_f16_e32 v59, 0x3b9c, v45
	v_pk_add_f16 v29, v29, v22
	v_fma_f16 v45, -0.5, v60, v61
	v_sub_f16_e32 v22, v22, v12
	v_fmac_f16_e32 v10, 0x34f2, v58
	v_fmac_f16_e32 v33, 0x38b4, v51
	v_add_f16_e32 v4, v55, v4
	v_fmac_f16_e32 v8, 0x34f2, v58
	v_fmac_f16_e32 v59, 0xb8b4, v51
	v_pk_add_f16 v29, v29, v17
	v_fmamk_f16 v51, v22, 0xbb9c, v45
	v_sub_f16_e32 v17, v17, v14
	v_sub_f16_e32 v55, v53, v56
	;; [unrolled: 1-line block ×3, first 2 shown]
	v_fmac_f16_e32 v45, 0x3b9c, v22
	v_pk_add_f16 v14, v29, v14
	v_fmac_f16_e32 v51, 0xb8b4, v17
	v_fmac_f16_e32 v33, 0x34f2, v4
	v_add_f16_e32 v29, v55, v58
	v_fmac_f16_e32 v45, 0x38b4, v17
	v_add_f16_e32 v60, v53, v54
	;; [unrolled: 2-line block ×3, first 2 shown]
	v_fmac_f16_e32 v51, 0x34f2, v29
	v_fmac_f16_e32 v45, 0x34f2, v29
	v_lshrrev_b32_e32 v29, 16, v11
	v_lshrrev_b32_e32 v55, 16, v3
	v_fmac_f16_e32 v61, -0.5, v60
	v_sub_f16_e32 v53, v56, v53
	v_sub_f16_e32 v54, v57, v54
	v_fma_f16 v4, -0.5, v4, v9
	v_sub_f16_e32 v56, v29, v55
	v_lshrrev_b32_e32 v57, 16, v7
	v_lshrrev_b32_e32 v58, 16, v5
	v_pk_add_f16 v14, v14, v12
	v_fmamk_f16 v12, v17, 0x3b9c, v61
	v_add_f16_e32 v53, v53, v54
	v_fmac_f16_e32 v61, 0xbb9c, v17
	v_fmamk_f16 v17, v56, 0x3b9c, v4
	v_add_f16_e32 v54, v11, v3
	v_sub_f16_e32 v60, v57, v58
	v_sub_f16_e32 v62, v3, v5
	;; [unrolled: 1-line block ×3, first 2 shown]
	v_fmac_f16_e32 v4, 0xbb9c, v56
	v_fmac_f16_e32 v12, 0xb8b4, v22
	v_fma_f16 v54, -0.5, v54, v9
	v_fmac_f16_e32 v61, 0x38b4, v22
	v_fmac_f16_e32 v17, 0x38b4, v60
	v_add_f16_e32 v22, v69, v62
	v_sub_f16_e32 v69, v5, v3
	v_sub_f16_e32 v72, v7, v11
	v_fmac_f16_e32 v4, 0xb8b4, v60
	v_fmac_f16_e32 v12, 0x34f2, v53
	v_fmamk_f16 v62, v60, 0xbb9c, v54
	v_fmac_f16_e32 v61, 0x34f2, v53
	v_fmac_f16_e32 v17, 0x34f2, v22
	v_add_f16_e32 v53, v72, v69
	v_fmac_f16_e32 v54, 0x3b9c, v60
	v_add_f16_e32 v60, v57, v58
	v_lshrrev_b32_e32 v69, 16, v9
	v_fmac_f16_e32 v4, 0x34f2, v22
	v_add_f16_e32 v22, v29, v55
	v_fmac_f16_e32 v62, 0x38b4, v56
	v_fmac_f16_e32 v54, 0xb8b4, v56
	v_fma_f16 v56, -0.5, v60, v69
	v_sub_f16_e32 v72, v7, v5
	v_fmac_f16_e32 v69, -0.5, v22
	v_sub_f16_e32 v60, v11, v3
	v_fmac_f16_e32 v62, 0x34f2, v53
	v_fmac_f16_e32 v54, 0x34f2, v53
	v_sub_f16_e32 v22, v29, v57
	v_fmamk_f16 v53, v72, 0x3b9c, v69
	v_sub_f16_e32 v29, v57, v29
	v_sub_f16_e32 v57, v58, v55
	v_pk_add_f16 v9, v9, v11
	v_fmac_f16_e32 v69, 0xbb9c, v72
	v_fmamk_f16 v11, v60, 0xbb9c, v56
	v_sub_f16_e32 v55, v55, v58
	v_fmac_f16_e32 v56, 0x3b9c, v60
	v_fmac_f16_e32 v53, 0xb8b4, v60
	v_add_f16_e32 v29, v29, v57
	v_fmac_f16_e32 v69, 0x38b4, v60
	v_pk_add_f16 v7, v9, v7
	v_fmac_f16_e32 v11, 0xb8b4, v72
	v_add_f16_e32 v22, v22, v55
	v_fmac_f16_e32 v56, 0x38b4, v72
	v_fmac_f16_e32 v53, 0x34f2, v29
	;; [unrolled: 1-line block ×3, first 2 shown]
	v_mul_f16_e32 v55, 0x34f2, v54
	v_pk_add_f16 v5, v7, v5
	v_fmac_f16_e32 v11, 0x34f2, v22
	v_fmac_f16_e32 v56, 0x34f2, v22
	v_mul_f16_e32 v22, 0x3a79, v4
	v_mul_f16_e32 v29, 0x3b9c, v53
	v_mul_f16_e32 v9, 0x3a79, v17
	v_fma_f16 v7, v69, 0x3b9c, -v55
	v_pk_add_f16 v55, v5, v3
	v_mul_f16_e32 v5, 0xb8b4, v17
	v_fma_f16 v3, v56, 0x38b4, -v22
	v_mul_f16_e32 v17, 0xbb9c, v62
	v_mul_f16_e32 v22, 0x34f2, v69
	;; [unrolled: 1-line block ×3, first 2 shown]
	v_fmac_f16_e32 v29, 0x34f2, v62
	v_fmac_f16_e32 v9, 0x38b4, v11
	;; [unrolled: 1-line block ×4, first 2 shown]
	v_fma_f16 v11, v54, 0xbb9c, -v22
	v_fma_f16 v22, v4, 0xb8b4, -v56
	v_add_f16_e32 v58, v33, v29
	v_add_f16_e32 v60, v59, v7
	;; [unrolled: 1-line block ×3, first 2 shown]
	v_sub_f16_e32 v29, v33, v29
	v_sub_f16_e32 v33, v59, v7
	;; [unrolled: 1-line block ×3, first 2 shown]
	v_pack_b32_f16 v3, v40, v41
	v_pack_b32_f16 v8, v44, v46
	;; [unrolled: 1-line block ×3, first 2 shown]
	v_add_f16_e32 v57, v10, v9
	v_add_f16_e32 v53, v51, v5
	v_sub_f16_e32 v72, v10, v9
	v_sub_f16_e32 v51, v51, v5
	v_pack_b32_f16 v9, v49, v30
	v_pack_b32_f16 v10, v35, v31
	;; [unrolled: 1-line block ×3, first 2 shown]
	v_add_f16_e32 v54, v12, v17
	v_add_f16_e32 v56, v61, v11
	v_sub_f16_e32 v17, v12, v17
	v_sub_f16_e32 v61, v61, v11
	v_pack_b32_f16 v12, v39, v32
	v_pack_b32_f16 v11, v50, v34
	v_add_f16_e32 v69, v45, v22
	v_sub_f16_e32 v22, v45, v22
	ds_store_2addr_b64 v67, v[2:3], v[7:8] offset1:1
	ds_store_2addr_b64 v67, v[5:6], v[9:10] offset0:2 offset1:3
	ds_store_b64 v67, v[11:12] offset:32
	v_mul_u32_u24_e32 v12, 10, v37
	v_pk_add_f16 v4, v14, v55
	v_pack_b32_f16 v5, v57, v53
	v_pack_b32_f16 v3, v60, v56
	;; [unrolled: 1-line block ×3, first 2 shown]
	v_pk_add_f16 v7, v14, v55 neg_lo:[0,1] neg_hi:[0,1]
	v_pack_b32_f16 v8, v72, v51
	v_pack_b32_f16 v9, v29, v17
	;; [unrolled: 1-line block ×5, first 2 shown]
	v_pk_add_f16 v23, v0, v13 neg_lo:[0,1] neg_hi:[0,1]
	v_add_lshl_u32 v69, v144, v12, 2
	v_pk_add_f16 v12, v0, v13
	v_pack_b32_f16 v13, v15, v26
	v_pack_b32_f16 v15, v24, v28
	v_pack_b32_f16 v14, v27, v25
	v_pack_b32_f16 v24, v18, v66
	v_pack_b32_f16 v25, v19, v65
	v_pack_b32_f16 v22, v16, v64
	v_pack_b32_f16 v27, v21, v70
	v_pack_b32_f16 v26, v20, v71
	ds_store_2addr_b64 v68, v[4:5], v[2:3] offset1:1
	ds_store_2addr_b64 v68, v[6:7], v[8:9] offset0:2 offset1:3
	ds_store_b64 v68, v[10:11] offset:32
	ds_store_2addr_b64 v69, v[12:13], v[14:15] offset1:1
	ds_store_2addr_b64 v69, v[22:23], v[24:25] offset0:2 offset1:3
	ds_store_b64 v69, v[26:27] offset:32
	s_waitcnt lgkmcnt(0)
	s_barrier
	buffer_gl0_inv
	ds_load_2addr_b32 v[55:56], v114 offset0:60 offset1:76
	ds_load_2addr_b32 v[49:50], v114 offset0:92 offset1:120
	;; [unrolled: 1-line block ×9, first 2 shown]
	ds_load_2addr_b32 v[32:33], v36 offset1:16
	ds_load_2addr_b32 v[30:31], v36 offset0:120 offset1:136
	ds_load_b32 v76, v143
	ds_load_b32 v72, v114 offset:1808
	v_or_b32_e32 v0, 48, v121
	v_add_co_u32 v51, s0, s8, v63
	s_delay_alu instid0(VALU_DEP_1) | instskip(NEXT) | instid1(VALU_DEP_3)
	v_add_co_ci_u32_e64 v52, null, s9, 0, s0
	v_cmp_gt_u64_e32 vcc_lo, 60, v[0:1]
                                        ; implicit-def: $vgpr54
                                        ; implicit-def: $vgpr73
                                        ; implicit-def: $vgpr74
	s_and_saveexec_b32 s0, vcc_lo
	s_cbranch_execz .LBB0_3
; %bb.2:
	ds_load_2addr_b32 v[16:17], v114 offset0:48 offset1:108
	ds_load_2addr_b32 v[18:19], v114 offset0:168 offset1:228
	;; [unrolled: 1-line block ×4, first 2 shown]
	s_waitcnt lgkmcnt(3)
	v_lshrrev_b32_e32 v64, 16, v16
	s_waitcnt lgkmcnt(2)
	v_lshrrev_b32_e32 v66, 16, v18
	v_lshrrev_b32_e32 v65, 16, v19
	s_waitcnt lgkmcnt(1)
	v_lshrrev_b32_e32 v71, 16, v20
	;; [unrolled: 3-line block ×3, first 2 shown]
	v_lshrrev_b32_e32 v73, 16, v54
	v_mov_b32_e32 v23, v17
.LBB0_3:
	s_or_b32 exec_lo, exec_lo, s0
	v_add_nc_u32_e32 v1, -10, v121
	v_cmp_gt_u32_e64 s0, 10, v121
	v_mul_lo_u16 v3, v38, 26
	s_waitcnt lgkmcnt(11)
	v_lshrrev_b32_e32 v147, 16, v50
	s_waitcnt lgkmcnt(10)
	v_lshrrev_b32_e32 v148, 16, v57
	;; [unrolled: 2-line block ×3, first 2 shown]
	v_cndmask_b32_e64 v146, v1, v121, s0
	v_lshrrev_b16 v17, 8, v3
	s_waitcnt lgkmcnt(8)
	v_lshrrev_b32_e32 v150, 16, v59
	s_waitcnt lgkmcnt(7)
	v_lshrrev_b32_e32 v151, 16, v27
	;; [unrolled: 2-line block ×3, first 2 shown]
	v_mul_i32_i24_e32 v1, 28, v146
	v_mul_hi_i32_i24_e32 v2, 28, v146
	v_lshrrev_b32_e32 v154, 16, v56
	s_waitcnt lgkmcnt(4)
	v_lshrrev_b32_e32 v155, 16, v34
	v_lshrrev_b32_e32 v159, 16, v58
	v_add_co_u32 v1, s0, s10, v1
	s_delay_alu instid0(VALU_DEP_1)
	v_add_co_ci_u32_e64 v2, s0, s11, v2, s0
	v_cmp_lt_u32_e64 s0, 9, v121
	s_waitcnt lgkmcnt(3)
	v_lshrrev_b32_e32 v162, 16, v32
	v_lshrrev_b32_e32 v166, 16, v60
	s_clause 0x1
	global_load_b128 v[4:7], v[1:2], off
	global_load_b96 v[42:44], v[1:2], off offset:16
	v_mul_lo_u16 v1, v37, 26
	v_mul_lo_u16 v2, v17, 10
	v_cndmask_b32_e64 v156, 0, 0x50, s0
	s_waitcnt lgkmcnt(2)
	v_lshrrev_b32_e32 v180, 16, v30
	v_lshrrev_b32_e32 v181, 16, v62
	v_lshrrev_b16 v22, 8, v1
	v_mul_lo_u16 v1, v0, 26
	v_sub_nc_u16 v78, v38, v2
	v_or_b32_e32 v191, v146, v156
	v_lshrrev_b32_e32 v183, 16, v49
	v_mul_lo_u16 v2, v22, 10
	v_lshrrev_b16 v75, 8, v1
	v_and_b32_e32 v3, 0xff, v78
	v_lshrrev_b32_e32 v184, 16, v35
	v_lshrrev_b32_e32 v185, 16, v28
	v_sub_nc_u16 v8, v37, v2
	v_mul_lo_u16 v9, v75, 10
	v_mad_u64_u32 v[1:2], null, v3, 28, s[10:11]
	v_lshrrev_b32_e32 v186, 16, v33
	s_delay_alu instid0(VALU_DEP_4) | instskip(NEXT) | instid1(VALU_DEP_4)
	v_and_b32_e32 v77, 0xff, v8
	v_sub_nc_u16 v0, v0, v9
	v_lshrrev_b32_e32 v187, 16, v26
	v_lshrrev_b32_e32 v188, 16, v31
	s_waitcnt lgkmcnt(0)
	v_lshrrev_b32_e32 v189, 16, v72
	v_mad_u64_u32 v[36:37], null, v77, 28, s[10:11]
	v_and_b32_e32 v145, 0xff, v0
	s_clause 0x1
	global_load_b128 v[12:15], v[1:2], off
	global_load_b96 v[45:47], v[1:2], off offset:16
	v_lshrrev_b32_e32 v190, 16, v23
	v_lshrrev_b32_e32 v153, 16, v24
	v_mad_u64_u32 v[79:80], null, v145, 28, s[10:11]
	s_clause 0x3
	global_load_b128 v[8:11], v[36:37], off
	global_load_b96 v[39:41], v[36:37], off offset:16
	global_load_b128 v[0:3], v[79:80], off
	global_load_b96 v[36:38], v[79:80], off offset:16
	v_lshrrev_b32_e32 v80, 16, v55
	v_lshrrev_b32_e32 v79, 16, v76
	;; [unrolled: 1-line block ×3, first 2 shown]
	v_mul_lo_u16 v17, 0x50, v17
	s_waitcnt vmcnt(0)
	s_barrier
	buffer_gl0_inv
	v_or_b32_e32 v17, v17, v78
	s_delay_alu instid0(VALU_DEP_1)
	v_and_b32_e32 v17, 0xff, v17
	v_lshrrev_b32_e32 v179, 16, v4
	v_lshrrev_b32_e32 v178, 16, v5
	;; [unrolled: 1-line block ×7, first 2 shown]
	v_mul_f16_e64 v146, v80, v179
	v_mul_f16_e64 v192, v55, v179
	;; [unrolled: 1-line block ×14, first 2 shown]
	v_fma_f16 v55, v55, v4, -v146
	v_fmac_f16_e64 v192, v80, v4
	v_fma_f16 v50, v50, v5, -v156
	v_fmac_f16_e64 v193, v147, v5
	;; [unrolled: 2-line block ×7, first 2 shown]
	v_lshrrev_b32_e32 v176, 16, v12
	v_lshrrev_b32_e32 v174, 16, v13
	;; [unrolled: 1-line block ×21, first 2 shown]
	v_sub_f16_e32 v29, v76, v29
	v_sub_f16_e64 v80, v79, v195
	v_sub_f16_e32 v27, v50, v27
	v_sub_f16_e64 v195, v193, v197
	;; [unrolled: 2-line block ×4, first 2 shown]
	v_mul_f16_e64 v198, v154, v176
	v_mul_f16_e64 v199, v56, v176
	;; [unrolled: 1-line block ×40, first 2 shown]
	v_fma_f16 v79, v79, 2.0, -v80
	v_fma_f16 v50, v50, 2.0, -v27
	;; [unrolled: 1-line block ×7, first 2 shown]
	v_sub_f16_e64 v195, v29, v195
	v_add_f16_e64 v240, v80, v27
	v_sub_f16_e64 v27, v59, v197
	v_fma_f16 v56, v56, v12, -v198
	v_fma_f16 v58, v58, v14, -v202
	;; [unrolled: 1-line block ×5, first 2 shown]
	v_fmac_f16_e64 v199, v154, v12
	v_fmac_f16_e64 v201, v155, v13
	;; [unrolled: 1-line block ×6, first 2 shown]
	v_fma_f16 v34, v34, v13, -v200
	v_fma_f16 v32, v32, v15, -v204
	;; [unrolled: 1-line block ×3, first 2 shown]
	v_fmac_f16_e64 v211, v181, v47
	v_fmac_f16_e64 v213, v183, v8
	v_fma_f16 v35, v35, v9, -v214
	v_fmac_f16_e64 v215, v184, v9
	v_fma_f16 v28, v28, v10, -v216
	v_fmac_f16_e64 v217, v185, v10
	v_fma_f16 v33, v33, v11, -v218
	v_fmac_f16_e64 v219, v186, v11
	v_fma_f16 v26, v26, v39, -v220
	v_fmac_f16_e64 v221, v187, v39
	v_fma_f16 v31, v31, v40, -v222
	v_fmac_f16_e64 v223, v188, v40
	v_fma_f16 v72, v72, v41, -v224
	v_fmac_f16_e64 v225, v189, v41
	v_mul_f16_e64 v227, v23, v149
	v_mul_f16_e64 v235, v21, v150
	v_fma_f16 v76, v76, 2.0, -v29
	v_add_f16_e64 v61, v196, v61
	v_fma_f16 v154, v23, v0, -v226
	v_fma_f16 v155, v18, v1, -v228
	v_fmac_f16_e64 v229, v66, v1
	v_fma_f16 v66, v19, v2, -v230
	v_fmac_f16_e64 v231, v65, v2
	;; [unrolled: 2-line block ×3, first 2 shown]
	v_fma_f16 v20, v21, v36, -v234
	v_fma_f16 v21, v53, v37, -v236
	v_fmac_f16_e64 v237, v74, v37
	v_fma_f16 v23, v54, v38, -v238
	v_fmac_f16_e64 v239, v73, v38
	v_sub_f16_e64 v53, v79, v193
	v_fma_f16 v54, v29, 2.0, -v195
	v_fma_f16 v65, v80, 2.0, -v240
	v_sub_f16_e32 v29, v55, v57
	v_sub_f16_e64 v57, v192, v194
	v_fma_f16 v59, v59, 2.0, -v27
	v_fma_f16 v71, 0x39a8, v27, v195
	v_sub_f16_e32 v32, v24, v32
	v_sub_f16_e64 v74, v153, v205
	v_sub_f16_e32 v30, v34, v30
	v_sub_f16_e64 v80, v201, v209
	;; [unrolled: 2-line block ×6, first 2 shown]
	v_sub_f16_e64 v181, v49, v26
	v_sub_f16_e64 v183, v213, v221
	v_sub_f16_e32 v26, v28, v72
	v_sub_f16_e64 v72, v217, v225
	v_fmac_f16_e64 v227, v190, v0
	v_fmac_f16_e64 v235, v70, v36
	v_sub_f16_e32 v50, v76, v50
	v_fma_f16 v70, v196, 2.0, -v61
	v_fma_f16 v73, 0x39a8, v61, v240
	v_sub_f16_e32 v19, v16, v18
	v_sub_f16_e64 v18, v64, v233
	v_sub_f16_e64 v184, v155, v21
	;; [unrolled: 1-line block ×6, first 2 shown]
	v_fma_f16 v79, v79, 2.0, -v53
	v_fma_f16 v55, v55, 2.0, -v29
	;; [unrolled: 1-line block ×3, first 2 shown]
	v_fma_f16 v189, 0xb9a8, v59, v54
	v_add_f16_e64 v192, v53, v29
	v_fmac_f16_e32 v71, 0xb9a8, v61
	v_fma_f16 v61, v24, 2.0, -v32
	v_fma_f16 v193, v153, 2.0, -v74
	;; [unrolled: 1-line block ×7, first 2 shown]
	v_sub_f16_e32 v80, v32, v80
	v_add_f16_e64 v196, v74, v30
	v_sub_f16_e64 v162, v60, v162
	v_add_f16_e64 v62, v159, v62
	v_fma_f16 v197, v25, 2.0, -v33
	v_fma_f16 v182, v182, 2.0, -v166
	;; [unrolled: 1-line block ×6, first 2 shown]
	v_sub_f16_e64 v20, v227, v235
	v_fma_f16 v76, v76, 2.0, -v50
	v_fma_f16 v190, 0xb9a8, v70, v65
	v_fmac_f16_e32 v73, 0x39a8, v27
	v_fma_f16 v56, v56, 2.0, -v60
	v_fma_f16 v200, v28, 2.0, -v26
	v_sub_f16_e64 v180, v33, v180
	v_add_f16_e64 v202, v166, v31
	v_add_f16_e64 v203, v183, v26
	v_fma_f16 v23, v64, 2.0, -v18
	v_fma_f16 v31, v155, 2.0, -v184
	;; [unrolled: 1-line block ×6, first 2 shown]
	v_sub_f16_e64 v27, v19, v185
	v_sub_f16_e64 v30, v21, v187
	;; [unrolled: 1-line block ×3, first 2 shown]
	v_fmac_f16_e64 v189, 0xb9a8, v70
	v_fma_f16 v70, v195, 2.0, -v71
	v_sub_f16_e64 v185, v61, v29
	v_fma_f16 v74, v74, 2.0, -v196
	v_sub_f16_e64 v187, v194, v153
	v_fma_f16 v159, v159, 2.0, -v62
	v_fma_f16 v188, 0x39a8, v162, v80
	v_fma_f16 v195, 0x39a8, v62, v196
	v_sub_f16_e64 v35, v197, v35
	v_sub_f16_e64 v198, v182, v198
	;; [unrolled: 1-line block ×3, first 2 shown]
	v_fma_f16 v49, v49, 2.0, -v181
	v_sub_f16_e64 v72, v181, v72
	v_add_f16_e64 v28, v20, v186
	v_sub_f16_e32 v55, v76, v55
	v_sub_f16_e64 v34, v193, v34
	v_fma_f16 v186, v32, 2.0, -v80
	v_sub_f16_e32 v58, v56, v58
	v_fma_f16 v60, v60, 2.0, -v162
	v_fma_f16 v204, v33, 2.0, -v180
	v_sub_f16_e32 v33, v26, v66
	v_fma_f16 v66, v79, 2.0, -v155
	v_fma_f16 v79, v194, 2.0, -v187
	v_fma_f16 v194, 0xb9a8, v159, v74
	v_sub_f16_e64 v187, v185, v187
	v_fmac_f16_e64 v188, 0xb9a8, v62
	v_fmac_f16_e64 v195, 0x39a8, v162
	v_fma_f16 v62, v197, 2.0, -v35
	v_fma_f16 v162, v182, 2.0, -v198
	;; [unrolled: 1-line block ×3, first 2 shown]
	v_fmac_f16_e64 v190, 0x39a8, v59
	v_fma_f16 v166, v166, 2.0, -v202
	v_sub_f16_e64 v200, v49, v200
	v_fma_f16 v181, v181, 2.0, -v72
	v_fma_f16 v183, v183, 2.0, -v203
	v_fma_f16 v206, 0x39a8, v203, v202
	v_sub_f16_e32 v29, v23, v64
	v_fma_f16 v64, v76, 2.0, -v55
	v_fma_f16 v61, v61, 2.0, -v185
	;; [unrolled: 1-line block ×4, first 2 shown]
	v_fma_f16 v193, 0xb9a8, v60, v186
	v_fmac_f16_e64 v194, 0x39a8, v60
	v_fma_f16 v60, v185, 2.0, -v187
	v_sub_f16_e64 v185, v162, v197
	v_sub_f16_e32 v57, v50, v57
	v_fma_f16 v205, 0x39a8, v72, v180
	v_fma_f16 v54, v54, 2.0, -v189
	v_fma_f16 v65, v65, 2.0, -v190
	v_fma_f16 v182, v49, 2.0, -v200
	v_fma_f16 v199, 0xb9a8, v181, v204
	v_fma_f16 v207, 0xb9a8, v183, v166
	v_fmac_f16_e64 v206, 0x39a8, v72
	v_sub_f16_e32 v56, v61, v56
	v_sub_f16_e32 v72, v76, v79
	v_fmac_f16_e64 v193, 0xb9a8, v159
	v_fma_f16 v79, v80, 2.0, -v188
	v_fma_f16 v80, v196, 2.0, -v195
	;; [unrolled: 1-line block ×3, first 2 shown]
	v_add_lshl_u32 v162, v144, v17, 2
	v_and_b32_e32 v17, 0xffff, v22
	v_fma_f16 v24, v16, 2.0, -v19
	v_add_f16_e64 v16, v18, v184
	v_fma_f16 v59, v50, 2.0, -v57
	v_fma_f16 v53, v53, 2.0, -v192
	;; [unrolled: 1-line block ×3, first 2 shown]
	v_add_f16_e32 v58, v34, v58
	v_fma_f16 v25, v227, 2.0, -v20
	v_add_f16_e64 v200, v198, v200
	v_sub_f16_e64 v182, v62, v182
	v_fmac_f16_e64 v199, 0xb9a8, v183
	v_fmac_f16_e64 v207, 0x39a8, v181
	v_fma_f16 v61, v61, 2.0, -v56
	v_fma_f16 v76, v76, 2.0, -v72
	;; [unrolled: 1-line block ×4, first 2 shown]
	v_add_lshl_u32 v159, v144, v191, 2
	v_pack_b32_f16 v64, v64, v66
	v_pack_b32_f16 v54, v54, v65
	v_mul_u32_u24_e32 v17, 0x50, v17
	v_sub_f16_e64 v201, v35, v201
	v_fmac_f16_e64 v205, 0xb9a8, v203
	v_fma_f16 v34, v34, 2.0, -v58
	v_pack_b32_f16 v53, v59, v53
	v_pack_b32_f16 v59, v70, v184
	;; [unrolled: 1-line block ×6, first 2 shown]
	v_sub_f16_e32 v32, v24, v31
	v_sub_f16_e64 v31, v25, v154
	v_fmamk_f16 v50, v30, 0x39a8, v27
	v_fma_f16 v153, 0x39a8, v28, v16
	v_fma_f16 v181, v198, 2.0, -v200
	v_fma_f16 v62, v62, 2.0, -v182
	;; [unrolled: 1-line block ×4, first 2 shown]
	ds_store_2addr_b32 v159, v64, v54 offset1:10
	ds_store_2addr_b32 v159, v53, v59 offset0:20 offset1:30
	ds_store_2addr_b32 v159, v55, v65 offset0:40 offset1:50
	ds_store_2addr_b32 v159, v57, v66 offset0:60 offset1:70
	v_pack_b32_f16 v22, v61, v76
	v_pack_b32_f16 v53, v186, v74
	v_or_b32_e32 v17, v17, v77
	v_fma_f16 v35, v35, 2.0, -v201
	v_fma_f16 v180, v180, 2.0, -v205
	;; [unrolled: 1-line block ×3, first 2 shown]
	v_pack_b32_f16 v34, v60, v34
	v_pack_b32_f16 v54, v79, v80
	;; [unrolled: 1-line block ×6, first 2 shown]
	v_sub_f16_e32 v49, v32, v31
	v_add_f16_e64 v154, v29, v33
	v_fmac_f16_e32 v50, 0xb9a8, v28
	v_fmac_f16_e64 v153, 0x39a8, v30
	ds_store_2addr_b32 v162, v22, v53 offset1:10
	ds_store_2addr_b32 v162, v34, v54 offset0:20 offset1:30
	ds_store_2addr_b32 v162, v55, v56 offset0:40 offset1:50
	;; [unrolled: 1-line block ×3, first 2 shown]
	v_add_lshl_u32 v166, v144, v17, 2
	v_pack_b32_f16 v17, v62, v196
	v_pack_b32_f16 v22, v197, v198
	v_and_b32_e32 v155, 0xffff, v75
	v_pack_b32_f16 v34, v35, v181
	v_pack_b32_f16 v35, v180, v183
	;; [unrolled: 1-line block ×6, first 2 shown]
	ds_store_2addr_b32 v166, v17, v22 offset1:10
	ds_store_2addr_b32 v166, v34, v35 offset0:20 offset1:30
	ds_store_2addr_b32 v166, v53, v54 offset0:40 offset1:50
	;; [unrolled: 1-line block ×3, first 2 shown]
	s_and_saveexec_b32 s0, vcc_lo
	s_cbranch_execz .LBB0_5
; %bb.4:
	v_fma_f16 v17, v19, 2.0, -v27
	v_fma_f16 v19, v21, 2.0, -v30
	v_fma_f16 v20, v20, 2.0, -v28
	v_fma_f16 v18, v18, 2.0, -v16
	v_fma_f16 v21, v27, 2.0, -v50
	v_fma_f16 v24, v24, 2.0, -v32
	v_fmamk_f16 v27, v19, 0xb9a8, v17
	v_fma_f16 v26, v26, 2.0, -v33
	v_fma_f16 v23, v23, 2.0, -v29
	;; [unrolled: 1-line block ×3, first 2 shown]
	v_fmamk_f16 v28, v20, 0xb9a8, v18
	v_fmac_f16_e32 v27, 0xb9a8, v20
	v_sub_f16_e32 v20, v24, v26
	v_mul_u32_u24_e32 v26, 0x50, v155
	v_sub_f16_e32 v25, v23, v25
	v_fmac_f16_e32 v28, 0x39a8, v19
	v_fma_f16 v17, v17, 2.0, -v27
	v_fma_f16 v19, v24, 2.0, -v20
	v_or_b32_e32 v24, v26, v145
	v_fma_f16 v23, v23, 2.0, -v25
	v_fma_f16 v18, v18, 2.0, -v28
	;; [unrolled: 1-line block ×5, first 2 shown]
	v_add_lshl_u32 v24, v144, v24, 2
	v_pack_b32_f16 v19, v19, v23
	v_pack_b32_f16 v17, v17, v18
	;; [unrolled: 1-line block ×6, first 2 shown]
	v_perm_b32 v22, v154, v49, 0x5040100
	v_perm_b32 v23, v153, v50, 0x5040100
	ds_store_2addr_b32 v24, v19, v17 offset1:10
	ds_store_2addr_b32 v24, v18, v16 offset0:20 offset1:30
	ds_store_2addr_b32 v24, v20, v21 offset0:40 offset1:50
	;; [unrolled: 1-line block ×3, first 2 shown]
.LBB0_5:
	s_or_b32 exec_lo, exec_lo, s0
	v_mad_u64_u32 v[28:29], null, v121, 20, s[10:11]
	s_waitcnt lgkmcnt(0)
	s_barrier
	buffer_gl0_inv
	v_add_nc_u32_e32 v59, 0x200, v114
	v_add_nc_u32_e32 v208, 0x400, v114
	s_add_u32 s0, s8, 0x780
	s_clause 0x3
	global_load_b128 v[20:23], v[28:29], off offset:280
	global_load_b128 v[16:19], v[28:29], off offset:600
	global_load_b32 v181, v[28:29], off offset:296
	global_load_b32 v180, v[28:29], off offset:616
	ds_load_2addr_b32 v[26:27], v114 offset0:80 offset1:96
	ds_load_2addr_b32 v[34:35], v59 offset0:112 offset1:128
	;; [unrolled: 1-line block ×3, first 2 shown]
	s_addc_u32 s1, s9, 0
	s_waitcnt lgkmcnt(2)
	v_lshrrev_b32_e32 v55, 16, v26
	s_waitcnt lgkmcnt(1)
	v_lshrrev_b32_e32 v56, 16, v34
	v_lshrrev_b32_e32 v25, 16, v35
	s_waitcnt lgkmcnt(0)
	v_lshrrev_b32_e32 v65, 16, v53
	v_lshrrev_b32_e32 v24, 16, v27
	s_waitcnt vmcnt(3)
	v_lshrrev_b32_e32 v187, 16, v20
	v_lshrrev_b32_e32 v186, 16, v22
	s_waitcnt vmcnt(2)
	v_lshrrev_b32_e32 v182, 16, v18
	s_waitcnt vmcnt(1)
	v_lshrrev_b32_e32 v185, 16, v181
	v_lshrrev_b32_e32 v184, 16, v16
	v_mul_f16_e64 v30, v55, v187
	v_mul_f16_e64 v31, v26, v187
	;; [unrolled: 1-line block ×5, first 2 shown]
	v_fma_f16 v33, v26, v20, -v30
	v_mul_f16_e64 v26, v65, v185
	v_mul_f16_e64 v58, v34, v186
	v_fma_f16 v57, v34, v22, -v57
	v_fma_f16 v34, v35, v18, -v60
	s_waitcnt vmcnt(0)
	v_lshrrev_b32_e32 v183, 16, v180
	v_fma_f16 v60, v53, v181, -v26
	v_lshrrev_b32_e32 v26, 16, v54
	v_fma_f16 v30, v27, v16, -v32
	v_mul_f16_e64 v32, v27, v184
	v_mul_f16_e64 v64, v53, v185
	;; [unrolled: 1-line block ×4, first 2 shown]
	v_fmac_f16_e32 v31, v55, v20
	v_fmac_f16_e32 v58, v56, v22
	ds_load_2addr_b32 v[55:56], v114 offset0:144 offset1:160
	v_lshrrev_b32_e32 v188, 16, v23
	v_fma_f16 v61, v54, v180, -v27
	ds_load_2addr_b32 v[53:54], v208 offset0:48 offset1:64
	v_lshrrev_b32_e32 v189, 16, v21
	v_fmac_f16_e64 v64, v65, v181
	v_add_f16_e32 v71, v33, v57
	v_add_f16_e32 v73, v31, v58
	v_mul_f16_e64 v35, v35, v182
	v_fmac_f16_e32 v32, v24, v16
	v_lshrrev_b32_e32 v191, 16, v17
	v_add_f16_e32 v71, v71, v60
	v_add_f16_e32 v73, v73, v64
	v_fmac_f16_e32 v35, v25, v18
	v_fmac_f16_e64 v62, v26, v180
	v_lshrrev_b32_e32 v190, 16, v19
	s_waitcnt lgkmcnt(1)
	v_lshrrev_b32_e32 v27, 16, v56
	v_mul_f16_e64 v65, v56, v189
	s_waitcnt lgkmcnt(0)
	v_lshrrev_b32_e32 v70, 16, v54
	v_mul_f16_e64 v66, v54, v188
	v_lshrrev_b32_e32 v230, 16, v53
	v_fmac_f16_e32 v65, v27, v21
	v_mul_f16_e64 v27, v27, v189
	s_delay_alu instid0(VALU_DEP_4) | instskip(SKIP_1) | instid1(VALU_DEP_3)
	v_fmac_f16_e32 v66, v70, v23
	v_mul_f16_e64 v70, v70, v188
	v_fma_f16 v56, v56, v21, -v27
	s_delay_alu instid0(VALU_DEP_2)
	v_fma_f16 v70, v54, v23, -v70
	ds_load_b32 v54, v143
	ds_load_b32 v214, v114 offset:1856
	ds_load_2addr_b32 v[75:76], v114 offset0:16 offset1:32
	s_waitcnt lgkmcnt(2)
	v_add_f16_e32 v27, v54, v56
	v_lshrrev_b32_e32 v215, 16, v54
	s_waitcnt lgkmcnt(0)
	v_lshrrev_b32_e32 v204, 16, v75
	s_delay_alu instid0(VALU_DEP_3) | instskip(NEXT) | instid1(VALU_DEP_1)
	v_add_f16_e32 v27, v27, v70
	v_add_f16_e32 v72, v27, v71
	v_sub_f16_e32 v27, v27, v71
	v_add_f16_e64 v71, v215, v65
	s_delay_alu instid0(VALU_DEP_1) | instskip(NEXT) | instid1(VALU_DEP_1)
	v_add_f16_e32 v71, v71, v66
	v_add_f16_e32 v74, v71, v73
	v_sub_f16_e32 v71, v71, v73
	s_delay_alu instid0(VALU_DEP_2) | instskip(NEXT) | instid1(VALU_DEP_2)
	v_pack_b32_f16 v24, v72, v74
	v_pack_b32_f16 v25, v27, v71
	ds_load_2addr_b32 v[71:72], v114 offset0:176 offset1:192
	ds_load_2addr_b32 v[73:74], v208 offset0:80 offset1:96
	;; [unrolled: 1-line block ×8, first 2 shown]
	s_waitcnt lgkmcnt(3)
	v_lshrrev_b32_e32 v225, 16, v210
	v_lshrrev_b32_e32 v26, 16, v71
	v_mul_f16_e64 v198, v71, v191
	v_lshrrev_b32_e32 v27, 16, v73
	v_mul_f16_e64 v203, v73, v190
	v_lshrrev_b32_e32 v206, 16, v72
	v_lshrrev_b32_e32 v209, 16, v74
	v_fmac_f16_e64 v198, v26, v17
	v_mul_f16_e64 v26, v26, v191
	v_fmac_f16_e64 v203, v27, v19
	v_mul_f16_e64 v27, v27, v190
	s_waitcnt lgkmcnt(1)
	v_lshrrev_b32_e32 v219, 16, v201
	v_lshrrev_b32_e32 v227, 16, v211
	v_fma_f16 v71, v71, v17, -v26
	s_waitcnt lgkmcnt(0)
	v_lshrrev_b32_e32 v232, 16, v212
	v_fma_f16 v73, v73, v19, -v27
	v_lshrrev_b32_e32 v234, 16, v213
	v_add_f16_e32 v26, v75, v71
	s_delay_alu instid0(VALU_DEP_1) | instskip(SKIP_1) | instid1(VALU_DEP_1)
	v_add_f16_e64 v195, v26, v73
	v_add_f16_e64 v26, v204, v198
	;; [unrolled: 1-line block ×3, first 2 shown]
	v_add_f16_e32 v26, v30, v34
	s_delay_alu instid0(VALU_DEP_1) | instskip(SKIP_1) | instid1(VALU_DEP_1)
	v_add_f16_e64 v197, v26, v61
	v_add_f16_e32 v26, v32, v35
	v_add_f16_e64 v205, v26, v62
	s_delay_alu instid0(VALU_DEP_3) | instskip(SKIP_1) | instid1(VALU_DEP_3)
	v_sub_f16_e64 v26, v195, v197
	v_add_f16_e64 v195, v195, v197
	v_sub_f16_e64 v27, v196, v205
	v_add_f16_e64 v196, v196, v205
	s_delay_alu instid0(VALU_DEP_2)
	v_pack_b32_f16 v26, v26, v27
	ds_store_b32 v143, v24
	ds_store_2addr_b32 v59, v25, v26 offset0:112 offset1:128
	s_clause 0x1
	global_load_b32 v192, v[28:29], off offset:936
	global_load_b128 v[24:27], v[28:29], off offset:920
	v_pack_b32_f16 v205, v195, v196
	v_lshrrev_b32_e32 v195, 16, v77
	s_waitcnt vmcnt(0)
	v_lshrrev_b32_e32 v194, 16, v25
	v_lshrrev_b32_e32 v197, 16, v24
	;; [unrolled: 1-line block ×3, first 2 shown]
	s_delay_alu instid0(VALU_DEP_3) | instskip(NEXT) | instid1(VALU_DEP_2)
	v_mul_f16_e64 v193, v206, v194
	v_mul_f16_e64 v217, v199, v196
	s_delay_alu instid0(VALU_DEP_2) | instskip(SKIP_2) | instid1(VALU_DEP_2)
	v_fma_f16 v207, v72, v25, -v193
	v_lshrrev_b32_e32 v193, 16, v27
	v_mul_f16_e64 v72, v72, v194
	v_mul_f16_e64 v216, v209, v193
	s_delay_alu instid0(VALU_DEP_2) | instskip(SKIP_1) | instid1(VALU_DEP_3)
	v_fmac_f16_e64 v72, v206, v25
	v_mul_f16_e64 v206, v77, v197
	v_fma_f16 v216, v74, v27, -v216
	v_mul_f16_e64 v74, v74, v193
	s_delay_alu instid0(VALU_DEP_3) | instskip(NEXT) | instid1(VALU_DEP_2)
	v_fmac_f16_e64 v206, v195, v24
	v_fmac_f16_e64 v74, v209, v27
	v_mul_f16_e64 v209, v195, v197
	v_lshrrev_b32_e32 v195, 16, v199
	s_delay_alu instid0(VALU_DEP_2) | instskip(NEXT) | instid1(VALU_DEP_2)
	v_fma_f16 v77, v77, v24, -v209
	v_fmac_f16_e64 v217, v195, v26
	v_mul_f16_e64 v218, v195, v196
	v_lshrrev_b32_e32 v195, 16, v192
	v_add_f16_e64 v209, v76, v207
	s_delay_alu instid0(VALU_DEP_3) | instskip(NEXT) | instid1(VALU_DEP_3)
	v_fma_f16 v199, v199, v26, -v218
	v_mul_f16_e64 v220, v201, v195
	s_delay_alu instid0(VALU_DEP_3) | instskip(NEXT) | instid1(VALU_DEP_2)
	v_add_f16_e64 v218, v209, v216
	v_fmac_f16_e64 v220, v219, v192
	v_mul_f16_e64 v219, v219, v195
	s_delay_alu instid0(VALU_DEP_1) | instskip(SKIP_1) | instid1(VALU_DEP_1)
	v_fma_f16 v201, v201, v192, -v219
	v_lshrrev_b32_e32 v219, 16, v76
	v_add_f16_e64 v209, v219, v72
	s_delay_alu instid0(VALU_DEP_1) | instskip(SKIP_1) | instid1(VALU_DEP_1)
	v_add_f16_e64 v221, v209, v74
	v_add_f16_e64 v209, v77, v199
	;; [unrolled: 1-line block ×4, first 2 shown]
	s_delay_alu instid0(VALU_DEP_1) | instskip(NEXT) | instid1(VALU_DEP_3)
	v_add_f16_e64 v223, v209, v220
	v_add_f16_e64 v209, v218, v222
	s_delay_alu instid0(VALU_DEP_2) | instskip(NEXT) | instid1(VALU_DEP_1)
	v_add_f16_e64 v224, v221, v223
	v_pack_b32_f16 v209, v209, v224
	ds_store_2addr_b32 v114, v205, v209 offset0:16 offset1:32
	v_sub_f16_e64 v205, v217, v220
	v_add_f16_e64 v209, v217, v220
	v_add_f16_e64 v217, v199, v201
	v_sub_f16_e64 v199, v199, v201
	v_add_f16_e64 v201, v207, v216
	s_delay_alu instid0(VALU_DEP_4) | instskip(NEXT) | instid1(VALU_DEP_4)
	v_fmac_f16_e64 v206, -0.5, v209
	v_fmac_f16_e64 v77, -0.5, v217
	v_add_f16_e64 v209, v71, v73
	s_delay_alu instid0(VALU_DEP_4)
	v_fmac_f16_e64 v76, -0.5, v201
	v_sub_f16_e32 v71, v71, v73
	v_sub_f16_e32 v73, v35, v62
	v_fma_f16 v201, 0x3aee, v205, v77
	v_fmac_f16_e64 v77, 0xbaee, v205
	v_sub_f16_e64 v205, v72, v74
	v_fma_f16 v75, -0.5, v209, v75
	v_add_f16_e32 v35, v35, v62
	v_add_f16_e32 v62, v34, v61
	v_sub_f16_e32 v34, v34, v61
	v_fma_f16 v217, 0x3aee, v205, v76
	v_fmac_f16_e64 v76, 0xbaee, v205
	v_fma_f16 v205, 0xbaee, v199, v206
	v_fmac_f16_e64 v206, 0x3aee, v199
	v_mul_f16_e64 v199, -0.5, v77
	v_fmac_f16_e32 v32, -0.5, v35
	v_fmac_f16_e32 v30, -0.5, v62
	s_delay_alu instid0(VALU_DEP_3) | instskip(NEXT) | instid1(VALU_DEP_2)
	v_fmac_f16_e64 v199, 0x3aee, v206
	v_fmamk_f16 v62, v73, 0x3aee, v30
	v_fmac_f16_e32 v30, 0xbaee, v73
	s_delay_alu instid0(VALU_DEP_3)
	v_add_f16_e64 v209, v76, v199
	v_sub_f16_e64 v76, v76, v199
	v_sub_f16_e64 v199, v65, v66
	v_add_f16_e32 v65, v65, v66
	v_add_f16_e32 v66, v56, v70
	v_sub_f16_e32 v56, v56, v70
	v_sub_f16_e32 v70, v58, v64
	v_add_f16_e32 v58, v58, v64
	v_add_f16_e32 v64, v57, v60
	v_sub_f16_e32 v57, v57, v60
	v_fmac_f16_e64 v215, -0.5, v65
	v_fmac_f16_e32 v54, -0.5, v66
	v_fmac_f16_e32 v31, -0.5, v58
	;; [unrolled: 1-line block ×3, first 2 shown]
	v_sub_f16_e64 v60, v198, v203
	v_fma_f16 v66, 0xbaee, v56, v215
	v_fmac_f16_e64 v215, 0x3aee, v56
	v_fmamk_f16 v35, v57, 0xbaee, v31
	v_fmamk_f16 v58, v70, 0x3aee, v33
	v_fmac_f16_e32 v33, 0xbaee, v70
	v_fmac_f16_e32 v31, 0x3aee, v57
	v_add_f16_e64 v198, v198, v203
	v_mul_f16_e32 v61, 0x3aee, v35
	v_fma_f16 v65, 0x3aee, v199, v54
	v_mul_f16_e32 v56, -0.5, v33
	v_mul_f16_e32 v57, -0.5, v31
	v_fmac_f16_e64 v204, -0.5, v198
	v_fmac_f16_e32 v61, 0.5, v58
	v_mul_f16_e32 v58, 0xbaee, v58
	v_fmac_f16_e32 v56, 0x3aee, v31
	v_mul_f16_e32 v31, -0.5, v30
	v_fmac_f16_e64 v54, 0xbaee, v199
	v_fmac_f16_e32 v57, 0xbaee, v33
	v_fmac_f16_e32 v58, 0.5, v35
	v_fmamk_f16 v35, v34, 0xbaee, v32
	v_fmac_f16_e32 v32, 0x3aee, v34
	v_fma_f16 v203, 0xbaee, v71, v204
	v_fmac_f16_e64 v204, 0x3aee, v71
	v_add_f16_e64 v198, v66, v58
	v_mul_f16_e32 v64, 0x3aee, v35
	v_fmac_f16_e32 v31, 0x3aee, v32
	v_mul_f16_e32 v32, -0.5, v32
	v_sub_f16_e64 v33, v215, v57
	v_mul_f16_e64 v70, -0.5, v206
	v_fmac_f16_e32 v64, 0.5, v62
	v_mul_f16_e32 v62, 0xbaee, v62
	v_fmac_f16_e32 v32, 0xbaee, v30
	v_sub_f16_e32 v30, v54, v56
	v_fmac_f16_e32 v70, 0xbaee, v77
	global_load_b32 v199, v[28:29], off offset:1256
	v_fmac_f16_e32 v62, 0.5, v35
	v_add_f16_e32 v35, v65, v61
	v_pack_b32_f16 v30, v30, v33
	v_sub_f16_e64 v34, v204, v32
	v_lshrrev_b32_e32 v71, 16, v78
	v_add_f16_e64 v224, v203, v62
	v_pack_b32_f16 v35, v35, v198
	v_fma_f16 v198, 0x3aee, v60, v75
	v_fmac_f16_e32 v75, 0xbaee, v60
	v_lshrrev_b32_e32 v206, 16, v55
	v_add_f16_e32 v54, v54, v56
	v_add_f16_e64 v56, v215, v57
	v_add_f16_e64 v220, v198, v64
	v_sub_f16_e32 v33, v75, v31
	s_delay_alu instid0(VALU_DEP_3) | instskip(NEXT) | instid1(VALU_DEP_3)
	v_pack_b32_f16 v54, v54, v56
	v_pack_b32_f16 v220, v220, v224
	s_delay_alu instid0(VALU_DEP_3)
	v_pack_b32_f16 v33, v33, v34
	ds_store_2addr_b32 v114, v35, v220 offset0:80 offset1:96
	ds_store_2addr_b32 v208, v30, v33 offset0:144 offset1:160
	v_add_f16_e32 v30, v72, v74
	v_sub_f16_e64 v33, v207, v216
	v_lshrrev_b32_e32 v74, 16, v200
	s_delay_alu instid0(VALU_DEP_3) | instskip(SKIP_2) | instid1(VALU_DEP_3)
	v_fmac_f16_e64 v219, -0.5, v30
	v_add_f16_e32 v30, v75, v31
	v_add_f16_e64 v31, v204, v32
	v_fma_f16 v60, 0xbaee, v33, v219
	v_fmac_f16_e64 v219, 0x3aee, v33
	s_delay_alu instid0(VALU_DEP_3) | instskip(NEXT) | instid1(VALU_DEP_2)
	v_pack_b32_f16 v30, v30, v31
	v_add_f16_e64 v31, v219, v70
	s_delay_alu instid0(VALU_DEP_1)
	v_pack_b32_f16 v31, v209, v31
	ds_store_2addr_b32 v114, v30, v31 offset0:176 offset1:192
	v_sub_f16_e64 v30, v198, v64
	v_sub_f16_e64 v31, v203, v62
	v_mul_f16_e64 v62, 0x3aee, v205
	v_mul_f16_e64 v64, 0xbaee, v201
	s_delay_alu instid0(VALU_DEP_3) | instskip(NEXT) | instid1(VALU_DEP_3)
	v_pack_b32_f16 v30, v30, v31
	v_fmac_f16_e64 v62, 0.5, v201
	s_delay_alu instid0(VALU_DEP_3) | instskip(NEXT) | instid1(VALU_DEP_2)
	v_fmac_f16_e64 v64, 0.5, v205
	v_sub_f16_e64 v31, v217, v62
	s_delay_alu instid0(VALU_DEP_2) | instskip(SKIP_2) | instid1(VALU_DEP_3)
	v_sub_f16_e32 v32, v60, v64
	v_add_f16_e32 v60, v60, v64
	v_add_f16_e64 v62, v217, v62
	v_pack_b32_f16 v31, v31, v32
	global_load_b128 v[32:35], v[28:29], off offset:1240
	v_pack_b32_f16 v60, v62, v60
	ds_store_2addr_b32 v208, v30, v31 offset0:80 offset1:96
	s_waitcnt vmcnt(0)
	v_lshrrev_b32_e32 v207, 16, v32
	v_lshrrev_b32_e32 v205, 16, v34
	;; [unrolled: 1-line block ×3, first 2 shown]
	s_delay_alu instid0(VALU_DEP_3) | instskip(SKIP_1) | instid1(VALU_DEP_4)
	v_mul_f16_e64 v30, v71, v207
	v_mul_f16_e64 v73, v78, v207
	;; [unrolled: 1-line block ×3, first 2 shown]
	s_delay_alu instid0(VALU_DEP_4) | instskip(NEXT) | instid1(VALU_DEP_4)
	v_mul_f16_e64 v229, v210, v209
	v_fma_f16 v72, v78, v32, -v30
	v_mul_f16_e64 v30, v74, v205
	v_lshrrev_b32_e32 v78, 16, v202
	v_fmac_f16_e32 v73, v71, v32
	v_lshrrev_b32_e32 v71, 16, v214
	v_fmac_f16_e32 v77, v74, v34
	v_fma_f16 v75, v200, v34, -v30
	v_lshrrev_b32_e32 v200, 16, v199
	v_fmac_f16_e64 v229, v225, v33
	s_delay_alu instid0(VALU_DEP_4) | instskip(NEXT) | instid1(VALU_DEP_4)
	v_add_f16_e64 v240, v73, v77
	v_add_f16_e64 v239, v72, v75
	s_delay_alu instid0(VALU_DEP_4) | instskip(SKIP_1) | instid1(VALU_DEP_2)
	v_mul_f16_e64 v30, v78, v200
	v_mul_f16_e64 v220, v202, v200
	v_fma_f16 v216, v202, v199, -v30
	s_clause 0x1
	global_load_b32 v198, v[28:29], off offset:1576
	global_load_b128 v[28:31], v[28:29], off offset:1560
	v_fmac_f16_e64 v220, v78, v199
	v_sub_f16_e64 v64, v75, v216
	s_waitcnt vmcnt(0)
	v_lshrrev_b32_e32 v201, 16, v28
	v_lshrrev_b32_e32 v203, 16, v29
	s_delay_alu instid0(VALU_DEP_2) | instskip(NEXT) | instid1(VALU_DEP_1)
	v_mul_f16_e64 v202, v206, v201
	v_fma_f16 v224, v55, v28, -v202
	v_mul_f16_e64 v202, v225, v209
	v_mul_f16_e64 v55, v55, v201
	s_delay_alu instid0(VALU_DEP_2) | instskip(SKIP_2) | instid1(VALU_DEP_4)
	v_fma_f16 v226, v210, v33, -v202
	v_mul_f16_e64 v202, v227, v203
	v_lshrrev_b32_e32 v210, 16, v35
	v_fmac_f16_e64 v55, v206, v28
	v_lshrrev_b32_e32 v206, 16, v198
	s_delay_alu instid0(VALU_DEP_4) | instskip(SKIP_2) | instid1(VALU_DEP_4)
	v_fma_f16 v228, v211, v29, -v202
	v_lshrrev_b32_e32 v202, 16, v30
	v_mul_f16_e64 v211, v211, v203
	v_mul_f16_e64 v74, v71, v206
	;; [unrolled: 1-line block ×3, first 2 shown]
	v_add_f16_e64 v225, v80, v228
	v_mul_f16_e64 v204, v230, v202
	v_fmac_f16_e64 v211, v227, v29
	v_fma_f16 v74, v214, v198, -v74
	v_fmac_f16_e64 v78, v71, v198
	v_lshrrev_b32_e32 v214, 16, v80
	v_fma_f16 v231, v53, v30, -v204
	v_mul_f16_e64 v204, v232, v210
	v_mul_f16_e64 v53, v53, v202
	s_delay_alu instid0(VALU_DEP_3) | instskip(NEXT) | instid1(VALU_DEP_3)
	v_add_f16_e64 v227, v224, v231
	v_fma_f16 v233, v212, v35, -v204
	v_lshrrev_b32_e32 v204, 16, v31
	s_delay_alu instid0(VALU_DEP_4) | instskip(SKIP_1) | instid1(VALU_DEP_3)
	v_fmac_f16_e64 v53, v230, v30
	v_mul_f16_e64 v212, v212, v210
	v_mul_f16_e64 v235, v234, v204
	s_delay_alu instid0(VALU_DEP_3) | instskip(NEXT) | instid1(VALU_DEP_3)
	v_add_f16_e64 v230, v55, v53
	v_fmac_f16_e64 v212, v232, v35
	s_delay_alu instid0(VALU_DEP_3) | instskip(SKIP_1) | instid1(VALU_DEP_3)
	v_fma_f16 v235, v213, v31, -v235
	v_mul_f16_e64 v213, v213, v204
	v_add_f16_e64 v237, v229, v212
	v_sub_f16_e64 v62, v229, v212
	s_delay_alu instid0(VALU_DEP_4) | instskip(NEXT) | instid1(VALU_DEP_4)
	v_add_f16_e64 v71, v228, v235
	v_fmac_f16_e64 v213, v234, v31
	v_add_f16_e64 v234, v226, v233
	v_sub_f16_e64 v57, v228, v235
	s_delay_alu instid0(VALU_DEP_4) | instskip(SKIP_1) | instid1(VALU_DEP_4)
	v_fmac_f16_e32 v80, -0.5, v71
	v_add_f16_e64 v71, v231, v74
	v_fma_f16 v234, -0.5, v234, v79
	s_delay_alu instid0(VALU_DEP_2) | instskip(SKIP_2) | instid1(VALU_DEP_2)
	v_fmac_f16_e64 v224, -0.5, v71
	v_add_f16_e32 v71, v53, v78
	v_sub_f16_e32 v53, v53, v78
	v_fmac_f16_e32 v55, -0.5, v71
	v_sub_f16_e64 v71, v211, v213
	s_delay_alu instid0(VALU_DEP_1) | instskip(SKIP_4) | instid1(VALU_DEP_1)
	v_fma_f16 v232, 0x3aee, v71, v80
	v_fmac_f16_e32 v80, 0xbaee, v71
	v_fma_f16 v71, 0x3aee, v53, v224
	v_fmac_f16_e64 v224, 0xbaee, v53
	v_sub_f16_e64 v53, v231, v74
	v_fma_f16 v231, 0xbaee, v53, v55
	v_fmac_f16_e32 v55, 0x3aee, v53
	s_delay_alu instid0(VALU_DEP_4) | instskip(NEXT) | instid1(VALU_DEP_1)
	v_mul_f16_e64 v53, -0.5, v224
	v_fmac_f16_e32 v53, 0x3aee, v55
	v_mul_f16_e32 v55, -0.5, v55
	s_delay_alu instid0(VALU_DEP_2) | instskip(SKIP_4) | instid1(VALU_DEP_3)
	v_add_f16_e64 v236, v80, v53
	v_sub_f16_e32 v53, v80, v53
	v_lshrrev_b32_e32 v80, 16, v79
	v_add_f16_e64 v79, v79, v226
	v_fmac_f16_e64 v55, 0xbaee, v224
	v_add_f16_e64 v238, v80, v229
	v_fmac_f16_e64 v80, -0.5, v237
	v_add_f16_e64 v237, v75, v216
	v_sub_f16_e64 v75, v77, v220
	v_add_f16_e64 v216, v239, v216
	s_delay_alu instid0(VALU_DEP_3) | instskip(SKIP_2) | instid1(VALU_DEP_3)
	v_fmac_f16_e64 v72, -0.5, v237
	v_add_f16_e64 v237, v77, v220
	v_add_f16_e64 v220, v240, v220
	v_fma_f16 v217, 0x3aee, v75, v72
	s_delay_alu instid0(VALU_DEP_3) | instskip(SKIP_1) | instid1(VALU_DEP_2)
	v_fmac_f16_e64 v73, -0.5, v237
	v_fmac_f16_e32 v72, 0xbaee, v75
	v_fmamk_f16 v77, v64, 0xbaee, v73
	v_fmac_f16_e32 v73, 0x3aee, v64
	s_delay_alu instid0(VALU_DEP_3) | instskip(NEXT) | instid1(VALU_DEP_3)
	v_mul_f16_e32 v64, -0.5, v72
	v_mul_f16_e64 v237, 0x3aee, v77
	s_delay_alu instid0(VALU_DEP_2) | instskip(NEXT) | instid1(VALU_DEP_2)
	v_fmac_f16_e32 v64, 0x3aee, v73
	v_fmac_f16_e64 v237, 0.5, v217
	v_mul_f16_e64 v217, 0xbaee, v217
	s_delay_alu instid0(VALU_DEP_1)
	v_fmac_f16_e64 v217, 0.5, v77
	v_sub_f16_e64 v77, v226, v233
	v_fma_f16 v226, 0x3aee, v62, v234
	v_fmac_f16_e64 v234, 0xbaee, v62
	v_sub_f16_e64 v62, v219, v70
	v_mul_f16_e32 v70, -0.5, v73
	v_fma_f16 v229, 0xbaee, v77, v80
	v_add_f16_e64 v241, v226, v237
	v_fmac_f16_e32 v80, 0x3aee, v77
	v_pack_b32_f16 v62, v76, v62
	v_fmac_f16_e32 v70, 0xbaee, v72
	v_add_f16_e64 v242, v229, v217
	v_sub_f16_e64 v72, v234, v64
	s_delay_alu instid0(VALU_DEP_3) | instskip(NEXT) | instid1(VALU_DEP_3)
	v_sub_f16_e32 v73, v80, v70
	v_pack_b32_f16 v241, v241, v242
	s_delay_alu instid0(VALU_DEP_2)
	v_pack_b32_f16 v72, v72, v73
	ds_store_2addr_b32 v114, v60, v241 offset0:112 offset1:128
	v_add_f16_e64 v60, v79, v233
	v_add_f16_e64 v79, v238, v212
	v_sub_f16_e64 v212, v218, v222
	v_sub_f16_e64 v218, v221, v223
	ds_store_2addr_b32 v208, v62, v72 offset0:176 offset1:192
	v_add_f16_e64 v72, v227, v74
	v_add_f16_e64 v62, v79, v220
	;; [unrolled: 1-line block ×3, first 2 shown]
	v_pack_b32_f16 v212, v212, v218
	v_sub_f16_e64 v218, v60, v216
	v_add_f16_e64 v60, v60, v216
	v_add_f16_e64 v73, v230, v78
	;; [unrolled: 1-line block ×3, first 2 shown]
	v_sub_f16_e64 v221, v79, v220
	s_delay_alu instid0(VALU_DEP_4) | instskip(SKIP_1) | instid1(VALU_DEP_4)
	v_pack_b32_f16 v60, v60, v62
	v_add_f16_e64 v62, v225, v235
	v_add_f16_e32 v76, v74, v73
	s_delay_alu instid0(VALU_DEP_4) | instskip(NEXT) | instid1(VALU_DEP_3)
	v_pack_b32_f16 v218, v218, v221
	v_add_f16_e32 v75, v62, v72
	ds_store_2addr_b32 v208, v212, v218 offset0:16 offset1:32
	v_pack_b32_f16 v75, v75, v76
	ds_store_2addr_b32 v114, v60, v75 offset0:48 offset1:64
	v_add_f16_e64 v60, v211, v213
	s_delay_alu instid0(VALU_DEP_1) | instskip(SKIP_1) | instid1(VALU_DEP_2)
	v_fmac_f16_e64 v214, -0.5, v60
	v_mul_f16_e64 v60, 0x3aee, v231
	v_fma_f16 v56, 0xbaee, v57, v214
	s_delay_alu instid0(VALU_DEP_2) | instskip(SKIP_2) | instid1(VALU_DEP_3)
	v_fmac_f16_e32 v60, 0.5, v71
	v_mul_f16_e32 v71, 0xbaee, v71
	v_fmac_f16_e64 v214, 0x3aee, v57
	v_add_f16_e64 v75, v232, v60
	s_delay_alu instid0(VALU_DEP_3) | instskip(NEXT) | instid1(VALU_DEP_3)
	v_fmac_f16_e64 v71, 0.5, v231
	v_add_f16_e64 v57, v214, v55
	s_delay_alu instid0(VALU_DEP_2) | instskip(NEXT) | instid1(VALU_DEP_2)
	v_add_f16_e32 v76, v56, v71
	v_pack_b32_f16 v57, v236, v57
	v_sub_f16_e32 v56, v56, v71
	s_delay_alu instid0(VALU_DEP_3) | instskip(SKIP_3) | instid1(VALU_DEP_1)
	v_pack_b32_f16 v75, v75, v76
	ds_store_2addr_b32 v114, v75, v54 offset0:144 offset1:160
	v_add_f16_e64 v54, v234, v64
	v_add_f16_e32 v64, v80, v70
	v_pack_b32_f16 v54, v54, v64
	ds_store_2addr_b32 v114, v54, v57 offset0:208 offset1:224
	v_sub_f16_e32 v54, v65, v61
	v_sub_f16_e32 v57, v66, v58
	;; [unrolled: 1-line block ×4, first 2 shown]
	s_delay_alu instid0(VALU_DEP_3) | instskip(NEXT) | instid1(VALU_DEP_2)
	v_pack_b32_f16 v54, v54, v57
	v_pack_b32_f16 v57, v58, v61
	v_sub_f16_e64 v58, v232, v60
	ds_store_2addr_b32 v208, v57, v54 offset0:48 offset1:64
	v_sub_f16_e64 v54, v226, v237
	v_sub_f16_e64 v57, v229, v217
	v_pack_b32_f16 v56, v58, v56
	s_delay_alu instid0(VALU_DEP_2) | instskip(SKIP_2) | instid1(VALU_DEP_1)
	v_pack_b32_f16 v54, v54, v57
	ds_store_2addr_b32 v208, v54, v56 offset0:112 offset1:128
	v_sub_f16_e64 v54, v214, v55
	v_pack_b32_f16 v53, v53, v54
	ds_store_b32 v114, v53 offset:1856
	s_waitcnt lgkmcnt(0)
	s_barrier
	buffer_gl0_inv
	global_load_b32 v51, v[51:52], off offset:1920
	ds_load_b32 v52, v143
	s_waitcnt lgkmcnt(0)
	v_lshrrev_b32_e32 v53, 16, v52
	s_waitcnt vmcnt(0)
	v_lshrrev_b32_e32 v54, 16, v51
	s_delay_alu instid0(VALU_DEP_1) | instskip(SKIP_1) | instid1(VALU_DEP_2)
	v_mul_f16_e32 v55, v53, v54
	v_mul_f16_e32 v54, v52, v54
	v_fma_f16 v52, v52, v51, -v55
	s_delay_alu instid0(VALU_DEP_2) | instskip(NEXT) | instid1(VALU_DEP_1)
	v_fmac_f16_e32 v54, v53, v51
	v_pack_b32_f16 v51, v52, v54
	ds_store_b32 v143, v51
	s_clause 0x5
	global_load_b32 v53, v63, s[0:1] offset:192
	global_load_b32 v54, v63, s[0:1] offset:256
	;; [unrolled: 1-line block ×6, first 2 shown]
	ds_load_2addr_b32 v[51:52], v114 offset0:48 offset1:64
	s_waitcnt lgkmcnt(0)
	v_lshrrev_b32_e32 v61, 16, v51
	s_waitcnt vmcnt(5)
	v_lshrrev_b32_e32 v60, 16, v53
	s_delay_alu instid0(VALU_DEP_1) | instskip(NEXT) | instid1(VALU_DEP_3)
	v_mul_f16_e32 v62, v51, v60
	v_mul_f16_e32 v60, v61, v60
	s_delay_alu instid0(VALU_DEP_2) | instskip(NEXT) | instid1(VALU_DEP_2)
	v_fmac_f16_e32 v62, v61, v53
	v_fma_f16 v53, v51, v53, -v60
	s_waitcnt vmcnt(4)
	v_lshrrev_b32_e32 v51, 16, v54
	v_lshrrev_b32_e32 v60, 16, v52
	s_delay_alu instid0(VALU_DEP_3) | instskip(NEXT) | instid1(VALU_DEP_3)
	v_pack_b32_f16 v53, v53, v62
	v_mul_f16_e32 v64, v52, v51
	s_delay_alu instid0(VALU_DEP_3) | instskip(NEXT) | instid1(VALU_DEP_2)
	v_mul_f16_e32 v61, v60, v51
	v_fmac_f16_e32 v64, v60, v54
	s_delay_alu instid0(VALU_DEP_2)
	v_fma_f16 v61, v52, v54, -v61
	s_clause 0x5
	global_load_b32 v54, v63, s[0:1] offset:576
	global_load_b32 v60, v63, s[0:1] offset:640
	;; [unrolled: 1-line block ×6, first 2 shown]
	ds_load_2addr_b32 v[51:52], v114 offset0:144 offset1:160
	v_pack_b32_f16 v61, v61, v64
	s_waitcnt lgkmcnt(0)
	v_lshrrev_b32_e32 v73, 16, v51
	s_waitcnt vmcnt(5)
	v_lshrrev_b32_e32 v72, 16, v54
	s_delay_alu instid0(VALU_DEP_1) | instskip(NEXT) | instid1(VALU_DEP_3)
	v_mul_f16_e32 v74, v51, v72
	v_mul_f16_e32 v72, v73, v72
	s_delay_alu instid0(VALU_DEP_2) | instskip(NEXT) | instid1(VALU_DEP_2)
	v_fmac_f16_e32 v74, v73, v54
	v_fma_f16 v54, v51, v54, -v72
	s_waitcnt vmcnt(4)
	v_lshrrev_b32_e32 v51, 16, v60
	v_lshrrev_b32_e32 v72, 16, v52
	s_delay_alu instid0(VALU_DEP_2) | instskip(NEXT) | instid1(VALU_DEP_2)
	v_mul_f16_e32 v75, v52, v51
	v_mul_f16_e32 v73, v72, v51
	s_delay_alu instid0(VALU_DEP_2) | instskip(NEXT) | instid1(VALU_DEP_2)
	v_fmac_f16_e32 v75, v72, v60
	v_fma_f16 v73, v52, v60, -v73
	global_load_b32 v60, v63, s[0:1] offset:960
	ds_load_2addr_b32 v[51:52], v59 offset0:112 offset1:128
	s_waitcnt lgkmcnt(0)
	v_lshrrev_b32_e32 v76, 16, v51
	s_waitcnt vmcnt(0)
	v_lshrrev_b32_e32 v72, 16, v60
	s_delay_alu instid0(VALU_DEP_1) | instskip(NEXT) | instid1(VALU_DEP_3)
	v_mul_f16_e32 v77, v51, v72
	v_mul_f16_e32 v72, v76, v72
	s_delay_alu instid0(VALU_DEP_2) | instskip(NEXT) | instid1(VALU_DEP_2)
	v_fmac_f16_e32 v77, v76, v60
	v_fma_f16 v60, v51, v60, -v72
	v_lshrrev_b32_e32 v51, 16, v65
	v_lshrrev_b32_e32 v72, 16, v52
	s_delay_alu instid0(VALU_DEP_2) | instskip(NEXT) | instid1(VALU_DEP_2)
	v_mul_f16_e32 v78, v52, v51
	v_mul_f16_e32 v76, v72, v51
	s_delay_alu instid0(VALU_DEP_2) | instskip(NEXT) | instid1(VALU_DEP_2)
	v_fmac_f16_e32 v78, v72, v65
	v_fma_f16 v76, v52, v65, -v76
	s_clause 0x3
	global_load_b32 v65, v63, s[0:1] offset:1344
	global_load_b32 v72, v63, s[0:1] offset:1408
	;; [unrolled: 1-line block ×4, first 2 shown]
	ds_load_2addr_b32 v[51:52], v208 offset0:80 offset1:96
	s_waitcnt lgkmcnt(0)
	v_lshrrev_b32_e32 v212, 16, v51
	s_waitcnt vmcnt(3)
	v_lshrrev_b32_e32 v211, 16, v65
	s_delay_alu instid0(VALU_DEP_1) | instskip(NEXT) | instid1(VALU_DEP_3)
	v_mul_f16_e64 v213, v51, v211
	v_mul_f16_e64 v211, v212, v211
	s_delay_alu instid0(VALU_DEP_2) | instskip(NEXT) | instid1(VALU_DEP_2)
	v_fmac_f16_e64 v213, v212, v65
	v_fma_f16 v65, v51, v65, -v211
	s_waitcnt vmcnt(2)
	v_lshrrev_b32_e32 v51, 16, v72
	v_lshrrev_b32_e32 v211, 16, v52
	s_delay_alu instid0(VALU_DEP_2) | instskip(NEXT) | instid1(VALU_DEP_2)
	v_mul_f16_e64 v214, v52, v51
	v_mul_f16_e64 v212, v211, v51
	s_delay_alu instid0(VALU_DEP_2) | instskip(NEXT) | instid1(VALU_DEP_2)
	v_fmac_f16_e64 v214, v211, v72
	v_fma_f16 v212, v52, v72, -v212
	s_clause 0x3
	global_load_b32 v72, v63, s[0:1] offset:1728
	global_load_b32 v211, v63, s[0:1] offset:1792
	;; [unrolled: 1-line block ×4, first 2 shown]
	ds_load_2addr_b32 v[51:52], v208 offset0:176 offset1:192
	s_waitcnt lgkmcnt(0)
	v_lshrrev_b32_e32 v218, 16, v51
	s_waitcnt vmcnt(3)
	v_lshrrev_b32_e32 v217, 16, v72
	s_delay_alu instid0(VALU_DEP_1) | instskip(NEXT) | instid1(VALU_DEP_3)
	v_mul_f16_e64 v219, v51, v217
	v_mul_f16_e64 v217, v218, v217
	s_delay_alu instid0(VALU_DEP_2) | instskip(NEXT) | instid1(VALU_DEP_2)
	v_fmac_f16_e64 v219, v218, v72
	v_fma_f16 v72, v51, v72, -v217
	s_waitcnt vmcnt(2)
	v_lshrrev_b32_e32 v51, 16, v211
	v_lshrrev_b32_e32 v217, 16, v52
	s_delay_alu instid0(VALU_DEP_2) | instskip(NEXT) | instid1(VALU_DEP_2)
	v_mul_f16_e64 v220, v52, v51
	v_mul_f16_e64 v218, v217, v51
	s_delay_alu instid0(VALU_DEP_2) | instskip(NEXT) | instid1(VALU_DEP_2)
	v_fmac_f16_e64 v220, v217, v211
	v_fma_f16 v218, v52, v211, -v218
	global_load_b32 v211, v63, s[0:1] offset:64
	ds_load_2addr_b32 v[51:52], v114 offset0:16 offset1:32
	s_waitcnt lgkmcnt(0)
	v_lshrrev_b32_e32 v221, 16, v51
	s_waitcnt vmcnt(0)
	v_lshrrev_b32_e32 v217, 16, v211
	s_delay_alu instid0(VALU_DEP_1) | instskip(NEXT) | instid1(VALU_DEP_3)
	v_mul_f16_e64 v222, v51, v217
	v_mul_f16_e64 v217, v221, v217
	s_delay_alu instid0(VALU_DEP_2) | instskip(NEXT) | instid1(VALU_DEP_2)
	v_fmac_f16_e64 v222, v221, v211
	v_fma_f16 v211, v51, v211, -v217
	v_lshrrev_b32_e32 v51, 16, v58
	v_lshrrev_b32_e32 v217, 16, v52
	s_delay_alu instid0(VALU_DEP_2) | instskip(NEXT) | instid1(VALU_DEP_2)
	v_mul_f16_e64 v223, v52, v51
	v_mul_f16_e64 v221, v217, v51
	s_delay_alu instid0(VALU_DEP_2) | instskip(NEXT) | instid1(VALU_DEP_2)
	v_fmac_f16_e64 v223, v217, v58
	v_fma_f16 v221, v52, v58, -v221
	global_load_b32 v58, v63, s[0:1] offset:384
	ds_load_2addr_b32 v[51:52], v114 offset0:80 offset1:96
	s_waitcnt lgkmcnt(0)
	v_lshrrev_b32_e32 v224, 16, v52
	s_waitcnt vmcnt(0)
	v_lshrrev_b32_e32 v217, 16, v58
	s_delay_alu instid0(VALU_DEP_1) | instskip(NEXT) | instid1(VALU_DEP_3)
	v_mul_f16_e64 v225, v52, v217
	v_mul_f16_e64 v217, v224, v217
	s_delay_alu instid0(VALU_DEP_2) | instskip(NEXT) | instid1(VALU_DEP_2)
	v_fmac_f16_e64 v225, v224, v58
	v_fma_f16 v58, v52, v58, -v217
	v_lshrrev_b32_e32 v52, 16, v57
	v_lshrrev_b32_e32 v217, 16, v51
	s_delay_alu instid0(VALU_DEP_2) | instskip(NEXT) | instid1(VALU_DEP_2)
	v_mul_f16_e64 v226, v51, v52
	v_mul_f16_e64 v224, v217, v52
	s_delay_alu instid0(VALU_DEP_2) | instskip(NEXT) | instid1(VALU_DEP_2)
	v_fmac_f16_e64 v226, v217, v57
	v_fma_f16 v224, v51, v57, -v224
	ds_load_2addr_b32 v[51:52], v114 offset0:112 offset1:128
	v_lshrrev_b32_e32 v57, 16, v55
	s_waitcnt lgkmcnt(0)
	v_lshrrev_b32_e32 v217, 16, v51
	s_delay_alu instid0(VALU_DEP_2) | instskip(NEXT) | instid1(VALU_DEP_2)
	v_mul_f16_e64 v227, v51, v57
	v_mul_f16_e64 v57, v217, v57
	s_delay_alu instid0(VALU_DEP_2) | instskip(NEXT) | instid1(VALU_DEP_2)
	v_fmac_f16_e64 v227, v217, v55
	v_fma_f16 v55, v51, v55, -v57
	v_lshrrev_b32_e32 v51, 16, v56
	v_lshrrev_b32_e32 v57, 16, v52
	s_delay_alu instid0(VALU_DEP_2) | instskip(NEXT) | instid1(VALU_DEP_2)
	v_mul_f16_e64 v228, v52, v51
	v_mul_f16_e64 v217, v57, v51
	s_delay_alu instid0(VALU_DEP_2) | instskip(NEXT) | instid1(VALU_DEP_2)
	v_fmac_f16_e64 v228, v57, v56
	v_fma_f16 v217, v52, v56, -v217
	global_load_b32 v56, v63, s[0:1] offset:768
	ds_load_2addr_b32 v[51:52], v114 offset0:176 offset1:192
	s_waitcnt lgkmcnt(0)
	v_lshrrev_b32_e32 v229, 16, v52
	s_waitcnt vmcnt(0)
	v_lshrrev_b32_e32 v57, 16, v56
	s_delay_alu instid0(VALU_DEP_1) | instskip(NEXT) | instid1(VALU_DEP_3)
	v_mul_f16_e64 v230, v52, v57
	v_mul_f16_e64 v57, v229, v57
	s_delay_alu instid0(VALU_DEP_2) | instskip(NEXT) | instid1(VALU_DEP_2)
	v_fmac_f16_e64 v230, v229, v56
	v_fma_f16 v56, v52, v56, -v57
	v_lshrrev_b32_e32 v52, 16, v71
	v_lshrrev_b32_e32 v57, 16, v51
	s_delay_alu instid0(VALU_DEP_2) | instskip(NEXT) | instid1(VALU_DEP_2)
	v_mul_f16_e64 v231, v51, v52
	v_mul_f16_e64 v229, v57, v52
	s_delay_alu instid0(VALU_DEP_2) | instskip(NEXT) | instid1(VALU_DEP_2)
	v_fmac_f16_e64 v231, v57, v71
	v_fma_f16 v229, v51, v71, -v229
	ds_load_2addr_b32 v[51:52], v114 offset0:208 offset1:224
	v_lshrrev_b32_e32 v57, 16, v66
	s_waitcnt lgkmcnt(0)
	v_lshrrev_b32_e32 v71, 16, v51
	s_delay_alu instid0(VALU_DEP_2) | instskip(NEXT) | instid1(VALU_DEP_2)
	v_mul_f16_e64 v232, v51, v57
	v_mul_f16_e32 v57, v71, v57
	s_delay_alu instid0(VALU_DEP_2) | instskip(NEXT) | instid1(VALU_DEP_2)
	v_fmac_f16_e64 v232, v71, v66
	v_fma_f16 v57, v51, v66, -v57
	v_lshrrev_b32_e32 v51, 16, v70
	v_lshrrev_b32_e32 v66, 16, v52
	s_delay_alu instid0(VALU_DEP_2) | instskip(NEXT) | instid1(VALU_DEP_2)
	v_mul_f16_e64 v233, v52, v51
	v_mul_f16_e32 v71, v66, v51
	s_delay_alu instid0(VALU_DEP_2) | instskip(NEXT) | instid1(VALU_DEP_2)
	v_fmac_f16_e64 v233, v66, v70
	v_fma_f16 v71, v52, v70, -v71
	s_clause 0x2
	global_load_b32 v66, v63, s[0:1] offset:1152
	global_load_b32 v70, v63, s[0:1] offset:1216
	;; [unrolled: 1-line block ×3, first 2 shown]
	ds_load_2addr_b32 v[51:52], v208 offset0:16 offset1:32
	ds_store_2addr_b32 v114, v53, v61 offset0:48 offset1:64
	v_pack_b32_f16 v53, v54, v74
	v_pack_b32_f16 v54, v73, v75
	ds_store_2addr_b32 v114, v53, v54 offset0:144 offset1:160
	v_pack_b32_f16 v53, v60, v77
	v_pack_b32_f16 v54, v76, v78
	;; [unrolled: 3-line block ×3, first 2 shown]
	s_waitcnt lgkmcnt(3)
	v_lshrrev_b32_e32 v236, 16, v52
	ds_store_2addr_b32 v208, v53, v54 offset0:80 offset1:96
	v_pack_b32_f16 v53, v72, v219
	v_pack_b32_f16 v54, v218, v220
	ds_store_2addr_b32 v208, v53, v54 offset0:176 offset1:192
	v_pack_b32_f16 v53, v211, v222
	v_pack_b32_f16 v54, v221, v223
	;; [unrolled: 3-line block ×6, first 2 shown]
	ds_store_2addr_b32 v114, v53, v54 offset0:208 offset1:224
	s_waitcnt vmcnt(2)
	v_lshrrev_b32_e32 v235, 16, v66
	s_delay_alu instid0(VALU_DEP_1) | instskip(SKIP_1) | instid1(VALU_DEP_2)
	v_mul_f16_e64 v237, v52, v235
	v_mul_f16_e64 v235, v236, v235
	v_fmac_f16_e64 v237, v236, v66
	s_delay_alu instid0(VALU_DEP_2) | instskip(SKIP_3) | instid1(VALU_DEP_3)
	v_fma_f16 v66, v52, v66, -v235
	s_waitcnt vmcnt(0)
	v_lshrrev_b32_e32 v52, 16, v234
	v_lshrrev_b32_e32 v235, 16, v51
	v_pack_b32_f16 v53, v66, v237
	s_delay_alu instid0(VALU_DEP_3) | instskip(NEXT) | instid1(VALU_DEP_3)
	v_mul_f16_e64 v238, v51, v52
	v_mul_f16_e64 v236, v235, v52
	s_delay_alu instid0(VALU_DEP_2) | instskip(NEXT) | instid1(VALU_DEP_2)
	v_fmac_f16_e64 v238, v235, v234
	v_fma_f16 v236, v51, v234, -v236
	ds_load_2addr_b32 v[51:52], v208 offset0:48 offset1:64
	v_lshrrev_b32_e32 v234, 16, v70
	v_pack_b32_f16 v54, v236, v238
	ds_store_2addr_b32 v208, v54, v53 offset0:16 offset1:32
	s_waitcnt lgkmcnt(1)
	v_lshrrev_b32_e32 v235, 16, v51
	v_mul_f16_e64 v239, v51, v234
	s_delay_alu instid0(VALU_DEP_2) | instskip(NEXT) | instid1(VALU_DEP_2)
	v_mul_f16_e64 v234, v235, v234
	v_fmac_f16_e64 v239, v235, v70
	s_delay_alu instid0(VALU_DEP_2) | instskip(SKIP_2) | instid1(VALU_DEP_3)
	v_fma_f16 v70, v51, v70, -v234
	v_lshrrev_b32_e32 v51, 16, v80
	v_lshrrev_b32_e32 v234, 16, v52
	v_pack_b32_f16 v53, v70, v239
	s_delay_alu instid0(VALU_DEP_3) | instskip(NEXT) | instid1(VALU_DEP_3)
	v_mul_f16_e64 v240, v52, v51
	v_mul_f16_e64 v235, v234, v51
	s_delay_alu instid0(VALU_DEP_2) | instskip(NEXT) | instid1(VALU_DEP_2)
	v_fmac_f16_e64 v240, v234, v80
	v_fma_f16 v235, v52, v80, -v235
	s_clause 0x1
	global_load_b32 v80, v63, s[0:1] offset:1536
	global_load_b32 v63, v63, s[0:1] offset:1600
	ds_load_2addr_b32 v[51:52], v208 offset0:112 offset1:128
	v_pack_b32_f16 v54, v235, v240
	ds_store_2addr_b32 v208, v53, v54 offset0:48 offset1:64
	s_waitcnt lgkmcnt(1)
	v_lshrrev_b32_e32 v241, 16, v52
	s_waitcnt vmcnt(1)
	v_lshrrev_b32_e32 v234, 16, v80
	s_delay_alu instid0(VALU_DEP_1) | instskip(NEXT) | instid1(VALU_DEP_3)
	v_mul_f16_e64 v242, v52, v234
	v_mul_f16_e64 v234, v241, v234
	s_delay_alu instid0(VALU_DEP_2) | instskip(NEXT) | instid1(VALU_DEP_2)
	v_fmac_f16_e64 v242, v241, v80
	v_fma_f16 v80, v52, v80, -v234
	v_lshrrev_b32_e32 v52, 16, v79
	v_lshrrev_b32_e32 v234, 16, v51
	s_delay_alu instid0(VALU_DEP_3) | instskip(NEXT) | instid1(VALU_DEP_3)
	v_pack_b32_f16 v53, v80, v242
	v_mul_f16_e64 v243, v51, v52
	s_delay_alu instid0(VALU_DEP_3) | instskip(NEXT) | instid1(VALU_DEP_2)
	v_mul_f16_e64 v241, v234, v52
	v_fmac_f16_e64 v243, v234, v79
	s_delay_alu instid0(VALU_DEP_2)
	v_fma_f16 v241, v51, v79, -v241
	ds_load_2addr_b32 v[51:52], v208 offset0:144 offset1:160
	s_waitcnt vmcnt(0)
	v_lshrrev_b32_e32 v79, 16, v63
	v_pack_b32_f16 v54, v241, v243
	ds_store_2addr_b32 v208, v54, v53 offset0:112 offset1:128
	s_waitcnt lgkmcnt(1)
	v_lshrrev_b32_e32 v234, 16, v51
	v_mul_f16_e64 v244, v51, v79
	s_delay_alu instid0(VALU_DEP_2) | instskip(NEXT) | instid1(VALU_DEP_2)
	v_mul_f16_e64 v79, v234, v79
	v_fmac_f16_e64 v244, v234, v63
	s_delay_alu instid0(VALU_DEP_2) | instskip(SKIP_2) | instid1(VALU_DEP_3)
	v_fma_f16 v51, v51, v63, -v79
	v_lshrrev_b32_e32 v63, 16, v216
	v_lshrrev_b32_e32 v79, 16, v52
	v_pack_b32_f16 v51, v51, v244
	s_delay_alu instid0(VALU_DEP_2) | instskip(SKIP_1) | instid1(VALU_DEP_2)
	v_mul_f16_e64 v234, v79, v63
	v_mul_f16_e32 v63, v52, v63
	v_fma_f16 v52, v52, v216, -v234
	s_delay_alu instid0(VALU_DEP_2)
	v_fmac_f16_e64 v63, v79, v216
	ds_load_b32 v79, v114 offset:1856
	v_lshrrev_b32_e32 v216, 16, v215
	v_pack_b32_f16 v52, v52, v63
	ds_store_2addr_b32 v208, v51, v52 offset0:144 offset1:160
	s_waitcnt lgkmcnt(1)
	v_lshrrev_b32_e32 v234, 16, v79
	v_mul_f16_e64 v245, v79, v216
	s_delay_alu instid0(VALU_DEP_2) | instskip(NEXT) | instid1(VALU_DEP_2)
	v_mul_f16_e64 v216, v234, v216
	v_fmac_f16_e64 v245, v234, v215
	s_delay_alu instid0(VALU_DEP_2) | instskip(NEXT) | instid1(VALU_DEP_1)
	v_fma_f16 v79, v79, v215, -v216
	v_pack_b32_f16 v51, v79, v245
	ds_store_b32 v114, v51 offset:1856
	s_waitcnt lgkmcnt(0)
	s_barrier
	buffer_gl0_inv
	ds_load_2addr_b32 v[53:54], v208 offset0:16 offset1:32
	ds_load_2addr_b32 v[51:52], v208 offset0:112 offset1:128
	;; [unrolled: 1-line block ×4, first 2 shown]
	s_waitcnt lgkmcnt(3)
	v_lshrrev_b32_e32 v73, 16, v54
	s_waitcnt lgkmcnt(2)
	v_sub_f16_e32 v60, v54, v52
	s_waitcnt lgkmcnt(0)
	v_sub_f16_e32 v61, v56, v58
	v_lshrrev_b32_e32 v79, 16, v58
	v_lshrrev_b32_e32 v80, 16, v52
	v_sub_f16_e64 v214, v56, v54
	v_sub_f16_e64 v215, v58, v52
	v_add_f16_e32 v71, v61, v60
	ds_load_2addr_b32 v[59:60], v59 offset0:112 offset1:128
	ds_load_2addr_b32 v[61:62], v208 offset0:80 offset1:96
	;; [unrolled: 1-line block ×4, first 2 shown]
	ds_load_b32 v219, v114 offset:1856
	v_sub_f16_e32 v76, v73, v80
	v_sub_f16_e64 v213, v79, v80
	s_waitcnt lgkmcnt(4)
	v_lshrrev_b32_e32 v216, 16, v59
	s_waitcnt lgkmcnt(3)
	v_lshrrev_b32_e32 v217, 16, v61
	s_waitcnt lgkmcnt(2)
	v_sub_f16_e32 v70, v61, v63
	s_waitcnt lgkmcnt(1)
	v_sub_f16_e32 v72, v59, v65
	v_lshrrev_b32_e32 v223, 16, v65
	v_lshrrev_b32_e32 v224, 16, v63
	v_add_f16_e64 v78, v216, v217
	v_sub_f16_e64 v225, v216, v217
	v_add_f16_e32 v74, v72, v70
	ds_load_b32 v70, v143
	v_lshrrev_b32_e32 v72, 16, v56
	v_sub_f16_e64 v227, v223, v224
	v_sub_f16_e64 v228, v217, v224
	;; [unrolled: 1-line block ×3, first 2 shown]
	s_delay_alu instid0(VALU_DEP_4) | instskip(SKIP_4) | instid1(VALU_DEP_1)
	v_add_f16_e32 v75, v72, v73
	v_sub_f16_e64 v211, v72, v73
	v_sub_f16_e32 v73, v80, v73
	s_waitcnt lgkmcnt(0)
	v_lshrrev_b32_e32 v220, 16, v70
	v_fma_f16 v221, -0.5, v75, v220
	v_add_f16_e32 v75, v79, v80
	v_sub_f16_e32 v80, v58, v56
	s_delay_alu instid0(VALU_DEP_2) | instskip(SKIP_3) | instid1(VALU_DEP_3)
	v_fmac_f16_e64 v220, -0.5, v75
	v_sub_f16_e32 v75, v72, v79
	v_sub_f16_e32 v72, v79, v72
	;; [unrolled: 1-line block ×3, first 2 shown]
	v_add_f16_e32 v75, v75, v76
	v_add_f16_e32 v76, v58, v52
	s_delay_alu instid0(VALU_DEP_3)
	v_add_f16_e32 v79, v80, v79
	v_add_f16_e32 v73, v72, v73
	v_sub_f16_e64 v72, v223, v216
	v_sub_f16_e64 v80, v224, v217
	v_fma_f16 v222, -0.5, v76, v70
	v_sub_f16_e64 v217, v65, v59
	v_pk_add_f16 v58, v70, v58
	s_delay_alu instid0(VALU_DEP_4) | instskip(NEXT) | instid1(VALU_DEP_4)
	v_add_f16_e32 v80, v72, v80
	v_fma_f16 v212, 0x3b9c, v211, v222
	v_fmac_f16_e64 v222, 0xbb9c, v211
	v_add_f16_e32 v72, v59, v61
	s_delay_alu instid0(VALU_DEP_3) | instskip(NEXT) | instid1(VALU_DEP_3)
	v_fmac_f16_e64 v212, 0xb8b4, v213
	v_fmac_f16_e64 v222, 0x38b4, v213
	s_delay_alu instid0(VALU_DEP_2) | instskip(NEXT) | instid1(VALU_DEP_2)
	v_fmac_f16_e64 v212, 0x34f2, v71
	v_fmac_f16_e64 v222, 0x34f2, v71
	v_fma_f16 v71, 0xbb9c, v214, v220
	v_fmac_f16_e64 v220, 0x3b9c, v214
	s_delay_alu instid0(VALU_DEP_2) | instskip(NEXT) | instid1(VALU_DEP_2)
	v_fmac_f16_e64 v71, 0x38b4, v215
	v_fmac_f16_e64 v220, 0xb8b4, v215
	s_delay_alu instid0(VALU_DEP_2) | instskip(NEXT) | instid1(VALU_DEP_2)
	v_fmac_f16_e32 v71, 0x34f2, v75
	v_fmac_f16_e64 v220, 0x34f2, v75
	ds_load_2addr_b32 v[75:76], v114 offset0:48 offset1:64
	s_waitcnt lgkmcnt(0)
	v_lshrrev_b32_e32 v77, 16, v75
	s_delay_alu instid0(VALU_DEP_1) | instskip(SKIP_1) | instid1(VALU_DEP_1)
	v_fma_f16 v218, -0.5, v78, v77
	v_add_f16_e64 v78, v223, v224
	v_fmac_f16_e32 v77, -0.5, v78
	v_add_f16_e32 v78, v65, v63
	s_delay_alu instid0(VALU_DEP_1) | instskip(NEXT) | instid1(VALU_DEP_1)
	v_fma_f16 v78, -0.5, v78, v75
	v_fma_f16 v226, 0x3b9c, v225, v78
	v_fmac_f16_e64 v78, 0xbb9c, v225
	s_delay_alu instid0(VALU_DEP_2) | instskip(NEXT) | instid1(VALU_DEP_2)
	v_fmac_f16_e64 v226, 0xb8b4, v227
	v_fmac_f16_e64 v78, 0x38b4, v227
	s_delay_alu instid0(VALU_DEP_2) | instskip(NEXT) | instid1(VALU_DEP_2)
	v_fmac_f16_e64 v226, 0x34f2, v74
	v_fmac_f16_e32 v78, 0x34f2, v74
	v_sub_f16_e64 v74, v216, v223
	v_sub_f16_e64 v216, v63, v61
	s_delay_alu instid0(VALU_DEP_2) | instskip(SKIP_1) | instid1(VALU_DEP_3)
	v_add_f16_e64 v74, v74, v228
	v_sub_f16_e64 v228, v59, v61
	v_add_f16_e64 v216, v217, v216
	v_fma_f16 v217, -0.5, v72, v75
	v_fma_f16 v72, 0x3b9c, v230, v218
	v_fmac_f16_e64 v218, 0xbb9c, v230
	v_fma_f16 v229, 0xbb9c, v228, v77
	v_fmac_f16_e64 v77, 0x3b9c, v228
	v_fma_f16 v223, 0xbb9c, v227, v217
	v_fmac_f16_e64 v72, 0x38b4, v228
	v_fmac_f16_e64 v217, 0x3b9c, v227
	v_fmac_f16_e64 v229, 0x38b4, v230
	;; [unrolled: 1-line block ×4, first 2 shown]
	v_fmac_f16_e32 v72, 0x34f2, v80
	v_fmac_f16_e64 v218, 0xb8b4, v228
	v_fmac_f16_e64 v229, 0x34f2, v74
	v_fmac_f16_e32 v77, 0x34f2, v74
	v_fmac_f16_e64 v223, 0x34f2, v216
	v_mul_f16_e64 v224, 0xb8b4, v72
	v_fmac_f16_e64 v217, 0x38b4, v225
	v_mul_f16_e64 v74, 0xbb9c, v229
	v_mul_f16_e64 v231, 0xbb9c, v77
	;; [unrolled: 1-line block ×4, first 2 shown]
	v_fmac_f16_e64 v224, 0x3a79, v223
	v_fmac_f16_e64 v74, 0x34f2, v226
	;; [unrolled: 1-line block ×5, first 2 shown]
	v_mul_f16_e64 v223, 0x38b4, v223
	v_fmac_f16_e64 v218, 0x34f2, v80
	v_add_f16_e64 v77, v222, v231
	v_add_f16_e64 v78, v220, v232
	;; [unrolled: 1-line block ×3, first 2 shown]
	v_fmac_f16_e64 v223, 0x3a79, v72
	v_sub_f16_e64 v72, v212, v74
	v_sub_f16_e64 v71, v71, v229
	v_pack_b32_f16 v78, v77, v78
	v_add_f16_e64 v77, v212, v74
	v_add_f16_e32 v74, v56, v54
	v_fma_f16 v212, 0x3b9c, v215, v221
	v_pk_add_f16 v56, v58, v56
	v_pk_add_f16 v58, v75, v65
	v_pack_b32_f16 v77, v77, v226
	v_fma_f16 v226, -0.5, v74, v70
	v_fmac_f16_e64 v212, 0x38b4, v214
	v_fmac_f16_e64 v221, 0xbb9c, v215
	v_pk_add_f16 v58, v58, v59
	v_pack_b32_f16 v72, v72, v71
	v_fma_f16 v74, 0xbb9c, v213, v226
	v_fmac_f16_e64 v212, 0x34f2, v73
	v_fmac_f16_e64 v226, 0x3b9c, v213
	v_fmac_f16_e64 v221, 0xb8b4, v214
	v_fmac_f16_e64 v217, 0x34f2, v216
	v_fmac_f16_e64 v74, 0xb8b4, v211
	v_sub_f16_e64 v229, v212, v223
	v_fmac_f16_e64 v226, 0x38b4, v211
	v_add_f16_e64 v80, v212, v223
	v_mul_f16_e64 v223, 0xb8b4, v218
	v_fmac_f16_e32 v74, 0x34f2, v79
	v_pk_add_f16 v54, v56, v54
	v_pk_add_f16 v56, v58, v61
	v_fmac_f16_e64 v226, 0x34f2, v79
	v_fmac_f16_e64 v221, 0x34f2, v73
	v_sub_f16_e64 v71, v74, v224
	v_add_f16_e64 v74, v74, v224
	v_mul_f16_e64 v224, 0xba79, v218
	v_fmac_f16_e64 v223, 0xba79, v217
	v_pk_add_f16 v52, v54, v52
	v_pk_add_f16 v54, v56, v63
	v_pack_b32_f16 v59, v74, v80
	v_fmac_f16_e64 v224, 0x38b4, v217
	ds_load_2addr_b32 v[79:80], v114 offset0:208 offset1:224
	ds_load_2addr_b32 v[211:212], v208 offset0:48 offset1:64
	ds_load_2addr_b32 v[213:214], v114 offset0:112 offset1:128
	ds_load_2addr_b32 v[215:216], v208 offset0:144 offset1:160
	ds_load_2addr_b32 v[217:218], v114 offset0:16 offset1:32
	v_pack_b32_f16 v71, v71, v229
	v_pk_add_f16 v58, v52, v54
	v_pk_add_f16 v74, v52, v54 neg_lo:[0,1] neg_hi:[0,1]
	v_add_f16_e64 v52, v226, v223
	v_add_f16_e64 v54, v221, v224
	s_waitcnt lgkmcnt(0)
	s_barrier
	buffer_gl0_inv
	v_sub_f16_e64 v56, v221, v224
	v_pack_b32_f16 v73, v52, v54
	ds_store_2addr_b64 v67, v[58:59], v[77:78] offset1:1
	ds_store_2addr_b64 v67, v[73:74], v[71:72] offset0:2 offset1:3
	v_sub_f16_e64 v52, v222, v231
	v_sub_f16_e64 v54, v226, v223
	;; [unrolled: 1-line block ×3, first 2 shown]
	v_lshrrev_b32_e32 v61, 16, v211
	v_lshrrev_b32_e32 v70, 16, v215
	;; [unrolled: 1-line block ×3, first 2 shown]
	v_pack_b32_f16 v59, v54, v56
	v_pack_b32_f16 v58, v52, v58
	v_sub_f16_e64 v52, v211, v215
	v_sub_f16_e64 v54, v79, v213
	v_lshrrev_b32_e32 v56, 16, v79
	v_lshrrev_b32_e32 v74, 16, v64
	ds_store_b64 v67, v[58:59] offset:32
	v_lshrrev_b32_e32 v67, 16, v213
	v_add_f16_e32 v52, v54, v52
	v_add_f16_e64 v54, v213, v215
	v_sub_f16_e32 v63, v56, v61
	v_sub_f16_e32 v75, v64, v62
	;; [unrolled: 1-line block ×3, first 2 shown]
	v_add_f16_e32 v58, v67, v70
	v_fma_f16 v54, -0.5, v54, v217
	v_sub_f16_e32 v59, v62, v64
	v_lshrrev_b32_e32 v77, 16, v66
	v_sub_f16_e32 v78, v66, v60
	v_add_f16_e64 v220, v60, v62
	v_fmamk_f16 v65, v63, 0x3b9c, v54
	v_fmac_f16_e32 v54, 0xbb9c, v63
	v_lshrrev_b32_e32 v221, 16, v60
	v_sub_f16_e64 v222, v60, v62
	v_sub_f16_e64 v223, v61, v70
	v_fmac_f16_e32 v65, 0xb8b4, v71
	v_fmac_f16_e32 v54, 0x38b4, v71
	v_sub_f16_e64 v225, v213, v215
	v_sub_f16_e64 v227, v77, v74
	s_delay_alu instid0(VALU_DEP_4) | instskip(NEXT) | instid1(VALU_DEP_4)
	v_fmac_f16_e32 v65, 0x34f2, v52
	v_fmac_f16_e32 v54, 0x34f2, v52
	v_add_f16_e32 v52, v56, v61
	v_sub_f16_e32 v61, v70, v61
	v_sub_f16_e64 v70, v215, v211
	s_delay_alu instid0(VALU_DEP_3) | instskip(SKIP_2) | instid1(VALU_DEP_1)
	v_fma_f16 v52, -0.5, v52, v72
	v_fmac_f16_e32 v72, -0.5, v58
	v_pk_add_f16 v58, v76, v66
	v_pk_add_f16 v58, v58, v60
	s_delay_alu instid0(VALU_DEP_1) | instskip(NEXT) | instid1(VALU_DEP_1)
	v_pk_add_f16 v58, v58, v62
	v_pk_add_f16 v73, v58, v64
	v_add_f16_e32 v58, v66, v64
	v_sub_f16_e32 v64, v66, v64
	v_sub_f16_e32 v66, v60, v66
	v_lshrrev_b32_e32 v60, 16, v62
	v_sub_f16_e32 v62, v56, v67
	v_fma_f16 v58, -0.5, v58, v76
	v_sub_f16_e32 v56, v67, v56
	v_add_f16_e32 v59, v66, v59
	v_add_f16_e64 v66, v221, v60
	v_add_f16_e64 v62, v62, v223
	v_sub_f16_e64 v223, v79, v211
	v_sub_f16_e64 v228, v60, v74
	;; [unrolled: 1-line block ×3, first 2 shown]
	v_add_f16_e32 v56, v56, v61
	s_delay_alu instid0(VALU_DEP_4) | instskip(SKIP_1) | instid1(VALU_DEP_2)
	v_fma_f16 v224, 0xbb9c, v223, v72
	v_fmac_f16_e64 v72, 0x3b9c, v223
	v_fmac_f16_e64 v224, 0x38b4, v225
	s_delay_alu instid0(VALU_DEP_2) | instskip(NEXT) | instid1(VALU_DEP_2)
	v_fmac_f16_e64 v72, 0xb8b4, v225
	v_fmac_f16_e64 v224, 0x34f2, v62
	s_delay_alu instid0(VALU_DEP_2) | instskip(SKIP_3) | instid1(VALU_DEP_3)
	v_fmac_f16_e32 v72, 0x34f2, v62
	v_fma_f16 v62, -0.5, v220, v76
	v_lshrrev_b32_e32 v76, 16, v76
	v_add_f16_e64 v220, v77, v74
	v_fma_f16 v61, 0xbb9c, v227, v62
	s_delay_alu instid0(VALU_DEP_3) | instskip(NEXT) | instid1(VALU_DEP_3)
	v_fma_f16 v66, -0.5, v66, v76
	v_fmac_f16_e64 v76, -0.5, v220
	v_sub_f16_e64 v220, v221, v60
	v_sub_f16_e32 v60, v74, v60
	v_sub_f16_e64 v74, v213, v79
	v_fmac_f16_e64 v62, 0x3b9c, v227
	s_delay_alu instid0(VALU_DEP_4) | instskip(SKIP_1) | instid1(VALU_DEP_4)
	v_fma_f16 v226, 0x3b9c, v220, v58
	v_fmac_f16_e64 v58, 0xbb9c, v220
	v_add_f16_e32 v70, v74, v70
	v_add_f16_e32 v74, v78, v75
	;; [unrolled: 1-line block ×3, first 2 shown]
	v_fmac_f16_e64 v226, 0xb8b4, v227
	v_fmac_f16_e64 v58, 0x38b4, v227
	v_fmamk_f16 v60, v64, 0x3b9c, v66
	v_fmac_f16_e64 v61, 0xb8b4, v220
	v_fmac_f16_e32 v66, 0xbb9c, v64
	v_fmac_f16_e64 v226, 0x34f2, v59
	v_fmac_f16_e32 v58, 0x34f2, v59
	v_sub_f16_e64 v59, v221, v77
	v_fmac_f16_e64 v60, 0x38b4, v222
	v_fmac_f16_e32 v61, 0x34f2, v74
	v_fma_f16 v221, 0x3b9c, v225, v52
	v_fmac_f16_e64 v52, 0xbb9c, v225
	v_add_f16_e64 v59, v59, v228
	v_fma_f16 v228, 0xbb9c, v222, v76
	v_fmac_f16_e64 v76, 0x3b9c, v222
	v_fmac_f16_e32 v60, 0x34f2, v67
	v_mul_f16_e32 v77, 0x38b4, v61
	v_fmac_f16_e64 v66, 0xb8b4, v222
	v_fmac_f16_e64 v228, 0x38b4, v64
	v_fmac_f16_e32 v76, 0xb8b4, v64
	v_mul_f16_e32 v75, 0xb8b4, v60
	v_fmac_f16_e32 v77, 0x3a79, v60
	v_fmac_f16_e64 v221, 0x38b4, v223
	v_fmac_f16_e64 v228, 0x34f2, v59
	v_fmac_f16_e32 v76, 0x34f2, v59
	v_fmac_f16_e64 v52, 0xb8b4, v223
	v_fmac_f16_e64 v62, 0x38b4, v220
	v_fmac_f16_e32 v66, 0x34f2, v67
	v_mul_f16_e64 v230, 0xbb9c, v228
	v_mul_f16_e64 v229, 0xbb9c, v76
	v_mul_f16_e32 v76, 0xb4f2, v76
	v_fmac_f16_e64 v221, 0x34f2, v56
	v_fmac_f16_e32 v52, 0x34f2, v56
	v_fmac_f16_e64 v230, 0x34f2, v226
	v_fmac_f16_e64 v229, 0xb4f2, v58
	v_fmac_f16_e32 v76, 0x3b9c, v58
	v_fmac_f16_e32 v62, 0x34f2, v74
	v_mul_f16_e32 v56, 0xb8b4, v66
	v_sub_f16_e64 v60, v65, v230
	v_add_f16_e64 v58, v54, v229
	v_add_f16_e32 v59, v72, v76
	v_mul_f16_e32 v66, 0xba79, v66
	v_mul_f16_e64 v228, 0x34f2, v228
	v_fmac_f16_e32 v56, 0xba79, v62
	v_fmac_f16_e32 v75, 0x3a79, v61
	v_pack_b32_f16 v59, v58, v59
	v_add_f16_e64 v58, v65, v230
	v_add_f16_e64 v65, v79, v211
	v_fmac_f16_e32 v66, 0x38b4, v62
	v_pk_add_f16 v62, v217, v213
	v_fmac_f16_e64 v228, 0x3b9c, v226
	v_sub_f16_e64 v54, v54, v229
	v_fma_f16 v78, -0.5, v65, v217
	v_add_f16_e32 v67, v52, v66
	v_pk_add_f16 v62, v62, v79
	v_sub_f16_e64 v61, v224, v228
	v_add_f16_e64 v226, v224, v228
	v_fmamk_f16 v65, v71, 0xbb9c, v78
	v_fmac_f16_e32 v78, 0x3b9c, v71
	v_pk_add_f16 v62, v62, v211
	v_pack_b32_f16 v61, v60, v61
	v_sub_f16_e64 v224, v221, v77
	v_fmac_f16_e32 v65, 0xb8b4, v63
	v_fmac_f16_e32 v78, 0x38b4, v63
	v_add_f16_e64 v63, v221, v77
	v_pack_b32_f16 v58, v58, v226
	v_sub_f16_e32 v52, v52, v66
	v_fmac_f16_e32 v65, 0x34f2, v70
	v_fmac_f16_e32 v78, 0x34f2, v70
	v_lshrrev_b32_e32 v70, 16, v218
	v_sub_f16_e64 v66, v80, v212
	v_sub_f16_e32 v77, v53, v55
	v_add_f16_e32 v64, v65, v75
	v_sub_f16_e32 v60, v65, v75
	v_pk_add_f16 v65, v62, v215
	v_lshrrev_b32_e32 v211, 16, v51
	v_lshrrev_b32_e32 v75, 16, v57
	v_pack_b32_f16 v63, v64, v63
	v_add_f16_e32 v64, v78, v56
	v_pk_add_f16 v62, v65, v73
	v_sub_f16_e32 v56, v78, v56
	v_pack_b32_f16 v60, v60, v224
	v_pk_add_f16 v65, v65, v73 neg_lo:[0,1] neg_hi:[0,1]
	v_pack_b32_f16 v64, v64, v67
	ds_store_2addr_b64 v68, v[62:63], v[58:59] offset1:1
	ds_store_2addr_b64 v68, v[64:65], v[60:61] offset0:2 offset1:3
	v_sub_f16_e32 v58, v72, v76
	v_pack_b32_f16 v59, v56, v52
	v_pk_add_f16 v52, v218, v214
	v_sub_f16_e64 v63, v80, v214
	v_lshrrev_b32_e32 v65, 16, v80
	v_pack_b32_f16 v58, v54, v58
	v_add_f16_e64 v54, v214, v216
	v_pk_add_f16 v52, v52, v80
	v_lshrrev_b32_e32 v67, 16, v212
	v_lshrrev_b32_e32 v61, 16, v214
	ds_store_b64 v68, v[58:59] offset:32
	v_sub_f16_e64 v59, v212, v216
	v_pk_add_f16 v52, v52, v212
	v_fma_f16 v68, -0.5, v54, v218
	v_sub_f16_e64 v60, v214, v216
	v_sub_f16_e64 v62, v214, v80
	v_add_f16_e32 v54, v63, v59
	v_pk_add_f16 v56, v52, v216
	v_lshrrev_b32_e32 v52, 16, v216
	v_sub_f16_e32 v59, v65, v67
	v_add_f16_e64 v64, v80, v212
	v_sub_f16_e64 v76, v51, v219
	v_lshrrev_b32_e32 v80, 16, v53
	v_sub_f16_e32 v71, v61, v52
	v_fmamk_f16 v63, v59, 0x3b9c, v68
	v_fmac_f16_e32 v68, 0xbb9c, v59
	v_sub_f16_e32 v73, v67, v52
	v_add_f16_e32 v76, v77, v76
	v_lshrrev_b32_e32 v77, 16, v55
	v_fmac_f16_e32 v63, 0xb8b4, v71
	v_fmac_f16_e32 v68, 0x38b4, v71
	v_sub_f16_e32 v78, v55, v53
	v_sub_f16_e64 v79, v55, v219
	v_lshrrev_b32_e32 v213, 16, v219
	v_fmac_f16_e32 v63, 0x34f2, v54
	v_fmac_f16_e32 v68, 0x34f2, v54
	v_add_f16_e32 v54, v65, v67
	v_sub_f16_e64 v58, v216, v212
	v_sub_f16_e64 v214, v211, v213
	;; [unrolled: 1-line block ×3, first 2 shown]
	v_fma_f16 v64, -0.5, v64, v218
	v_fma_f16 v72, -0.5, v54, v70
	v_add_f16_e32 v54, v61, v52
	v_sub_f16_e32 v52, v52, v67
	v_sub_f16_e64 v67, v213, v211
	v_add_f16_e32 v58, v62, v58
	s_delay_alu instid0(VALU_DEP_4) | instskip(SKIP_3) | instid1(VALU_DEP_3)
	v_fmac_f16_e32 v70, -0.5, v54
	v_sub_f16_e32 v54, v65, v61
	v_sub_f16_e32 v61, v61, v65
	;; [unrolled: 1-line block ×3, first 2 shown]
	v_add_f16_e32 v54, v54, v73
	v_fmamk_f16 v73, v66, 0xbb9c, v70
	v_fmac_f16_e32 v70, 0x3b9c, v66
	v_add_f16_e32 v61, v61, v52
	v_add_f16_e32 v65, v65, v67
	s_delay_alu instid0(VALU_DEP_4) | instskip(NEXT) | instid1(VALU_DEP_4)
	v_fmac_f16_e32 v73, 0x38b4, v60
	v_fmac_f16_e32 v70, 0xb8b4, v60
	s_delay_alu instid0(VALU_DEP_2) | instskip(NEXT) | instid1(VALU_DEP_2)
	v_fmac_f16_e32 v73, 0x34f2, v54
	v_fmac_f16_e32 v70, 0x34f2, v54
	v_add_f16_e32 v54, v53, v51
	s_delay_alu instid0(VALU_DEP_1) | instskip(SKIP_1) | instid1(VALU_DEP_2)
	v_fma_f16 v74, -0.5, v54, v57
	v_add_f16_e64 v54, v55, v219
	v_fma_f16 v52, 0xbb9c, v216, v74
	s_delay_alu instid0(VALU_DEP_2) | instskip(SKIP_3) | instid1(VALU_DEP_3)
	v_fma_f16 v54, -0.5, v54, v57
	v_pk_add_f16 v57, v57, v55
	v_add_f16_e64 v55, v80, v211
	v_fmac_f16_e64 v74, 0x3b9c, v216
	v_pk_add_f16 v57, v57, v53
	s_delay_alu instid0(VALU_DEP_3) | instskip(SKIP_2) | instid1(VALU_DEP_4)
	v_fma_f16 v212, -0.5, v55, v75
	v_add_f16_e64 v55, v77, v213
	v_sub_f16_e32 v53, v53, v51
	v_pk_add_f16 v57, v57, v51
	v_sub_f16_e64 v51, v219, v51
	s_delay_alu instid0(VALU_DEP_4) | instskip(SKIP_1) | instid1(VALU_DEP_4)
	v_fmac_f16_e32 v75, -0.5, v55
	v_sub_f16_e32 v55, v80, v77
	v_pk_add_f16 v57, v57, v219
	s_delay_alu instid0(VALU_DEP_4) | instskip(SKIP_1) | instid1(VALU_DEP_4)
	v_add_f16_e32 v62, v78, v51
	v_fma_f16 v51, 0x3b9c, v79, v212
	v_add_f16_e64 v55, v55, v214
	v_sub_f16_e64 v214, v80, v211
	v_fmamk_f16 v78, v71, 0xbb9c, v64
	v_fmac_f16_e64 v212, 0xbb9c, v79
	v_fmac_f16_e32 v51, 0x38b4, v53
	v_fmac_f16_e32 v64, 0x3b9c, v71
	v_fma_f16 v215, 0x3b9c, v214, v54
	v_fmac_f16_e64 v54, 0xbb9c, v214
	v_fmac_f16_e64 v52, 0xb8b4, v214
	v_fmac_f16_e32 v51, 0x34f2, v65
	v_fmac_f16_e32 v78, 0xb8b4, v59
	v_fmac_f16_e64 v215, 0xb8b4, v216
	v_fmac_f16_e64 v54, 0x38b4, v216
	v_fmac_f16_e32 v52, 0x34f2, v62
	v_mul_f16_e32 v67, 0xb8b4, v51
	v_fmac_f16_e32 v78, 0x34f2, v58
	v_fmac_f16_e64 v215, 0x34f2, v76
	v_fmac_f16_e32 v54, 0x34f2, v76
	v_fmamk_f16 v76, v53, 0xbb9c, v75
	v_fmac_f16_e32 v75, 0x3b9c, v53
	v_fmac_f16_e32 v67, 0x3a79, v52
	v_mul_f16_e32 v77, 0x38b4, v52
	v_fmac_f16_e64 v212, 0xb8b4, v53
	v_fmac_f16_e32 v76, 0x38b4, v79
	v_fmac_f16_e32 v75, 0xb8b4, v79
	v_fmac_f16_e64 v74, 0x38b4, v214
	v_fmac_f16_e32 v77, 0x3a79, v51
	v_sub_f16_e32 v51, v78, v67
	v_fmac_f16_e32 v76, 0x34f2, v55
	v_fmac_f16_e32 v75, 0x34f2, v55
	v_fmac_f16_e64 v212, 0x34f2, v65
	v_fmac_f16_e32 v64, 0x38b4, v59
	v_fmac_f16_e32 v74, 0x34f2, v62
	v_mul_f16_e64 v218, 0xbb9c, v76
	v_mul_f16_e64 v217, 0xbb9c, v75
	v_mul_f16_e32 v75, 0xb4f2, v75
	v_mul_f16_e32 v76, 0x34f2, v76
	v_mul_f16_e64 v65, 0xb8b4, v212
	v_fmac_f16_e64 v218, 0x34f2, v215
	v_fmac_f16_e64 v217, 0xb4f2, v54
	v_fmac_f16_e32 v75, 0x3b9c, v54
	v_fmac_f16_e64 v76, 0x3b9c, v215
	v_fmac_f16_e32 v64, 0x34f2, v58
	v_sub_f16_e64 v52, v63, v218
	v_add_f16_e64 v54, v68, v217
	v_add_f16_e32 v55, v70, v75
	v_fmac_f16_e32 v65, 0xba79, v74
	v_add_f16_e64 v215, v73, v76
	v_sub_f16_e64 v213, v73, v76
	v_pk_add_f16 v59, v56, v57
	v_pack_b32_f16 v55, v54, v55
	v_add_f16_e64 v54, v63, v218
	v_add_f16_e32 v63, v78, v67
	v_fmamk_f16 v67, v60, 0x3b9c, v72
	v_fmac_f16_e32 v72, 0xbb9c, v60
	v_pk_add_f16 v58, v56, v57 neg_lo:[0,1] neg_hi:[0,1]
	v_pack_b32_f16 v54, v54, v215
	v_pack_b32_f16 v62, v52, v213
	v_fmac_f16_e32 v67, 0x38b4, v66
	v_fmac_f16_e32 v72, 0xb8b4, v66
	v_mul_f16_e64 v66, 0xba79, v212
	v_sub_f16_e32 v56, v64, v65
	s_delay_alu instid0(VALU_DEP_4) | instskip(NEXT) | instid1(VALU_DEP_4)
	v_fmac_f16_e32 v67, 0x34f2, v61
	v_fmac_f16_e32 v72, 0x34f2, v61
	s_delay_alu instid0(VALU_DEP_4) | instskip(NEXT) | instid1(VALU_DEP_3)
	v_fmac_f16_e32 v66, 0x38b4, v74
	v_add_f16_e32 v53, v67, v77
	v_sub_f16_e64 v212, v67, v77
	s_delay_alu instid0(VALU_DEP_3) | instskip(SKIP_1) | instid1(VALU_DEP_4)
	v_add_f16_e64 v211, v72, v66
	v_sub_f16_e64 v214, v72, v66
	v_pack_b32_f16 v60, v63, v53
	v_add_f16_e32 v53, v64, v65
	v_pack_b32_f16 v61, v51, v212
	s_delay_alu instid0(VALU_DEP_2)
	v_pack_b32_f16 v57, v53, v211
	ds_store_2addr_b64 v69, v[59:60], v[54:55] offset1:1
	v_sub_f16_e64 v55, v68, v217
	v_pack_b32_f16 v60, v56, v214
	ds_store_2addr_b64 v69, v[57:58], v[61:62] offset0:2 offset1:3
	v_sub_f16_e32 v57, v70, v75
	s_delay_alu instid0(VALU_DEP_1)
	v_pack_b32_f16 v59, v55, v57
	ds_store_b64 v69, v[59:60] offset:32
	s_waitcnt lgkmcnt(0)
	s_barrier
	buffer_gl0_inv
	ds_load_b32 v216, v143
	ds_load_b32 v215, v114 offset:1808
	ds_load_2addr_b32 v[79:80], v114 offset0:60 offset1:76
	ds_load_2addr_b32 v[69:70], v114 offset0:92 offset1:120
	;; [unrolled: 1-line block ×9, first 2 shown]
	ds_load_2addr_b32 v[67:68], v208 offset1:16
	ds_load_2addr_b32 v[61:62], v208 offset0:120 offset1:136
	s_and_saveexec_b32 s0, vcc_lo
	s_cbranch_execz .LBB0_7
; %bb.6:
	ds_load_2addr_b32 v[53:54], v114 offset0:48 offset1:108
	ds_load_2addr_b32 v[51:52], v114 offset0:168 offset1:228
	;; [unrolled: 1-line block ×4, first 2 shown]
	s_waitcnt lgkmcnt(3)
	v_lshrrev_b32_e32 v211, 16, v53
	s_waitcnt lgkmcnt(2)
	v_lshrrev_b32_e32 v212, 16, v51
	v_lshrrev_b32_e32 v213, 16, v52
	s_waitcnt lgkmcnt(1)
	v_lshrrev_b32_e32 v57, 16, v55
	;; [unrolled: 3-line block ×3, first 2 shown]
	v_lshrrev_b32_e32 v153, 16, v50
	v_mov_b32_e32 v58, v54
.LBB0_7:
	s_or_b32 exec_lo, exec_lo, s0
	s_waitcnt lgkmcnt(10)
	v_lshrrev_b32_e32 v208, 16, v79
	s_waitcnt lgkmcnt(9)
	v_lshrrev_b32_e32 v217, 16, v70
	;; [unrolled: 2-line block ×5, first 2 shown]
	v_mul_f16_e64 v236, v179, v208
	v_mul_f16_e64 v179, v179, v79
	s_waitcnt lgkmcnt(5)
	v_lshrrev_b32_e32 v221, 16, v64
	s_waitcnt lgkmcnt(4)
	v_lshrrev_b32_e32 v222, 16, v73
	v_lshrrev_b32_e32 v224, 16, v80
	v_fmac_f16_e64 v236, v4, v79
	v_mul_f16_e64 v79, v178, v217
	v_mul_f16_e64 v178, v178, v70
	v_fma_f16 v4, v4, v208, -v179
	v_mul_f16_e64 v179, v177, v218
	v_mul_f16_e64 v177, v177, v77
	v_fmac_f16_e32 v79, v5, v70
	v_mul_f16_e64 v70, v175, v219
	s_waitcnt lgkmcnt(2)
	v_lshrrev_b32_e32 v225, 16, v71
	v_fmac_f16_e64 v179, v6, v77
	v_mul_f16_e64 v77, v175, v66
	v_mul_f16_e64 v175, v173, v220
	v_fmac_f16_e32 v70, v7, v66
	v_mul_f16_e64 v66, v173, v75
	v_mul_f16_e64 v173, v171, v221
	v_lshrrev_b32_e32 v226, 16, v78
	v_fmac_f16_e64 v175, v42, v75
	v_mul_f16_e64 v75, v171, v64
	v_fma_f16 v42, v42, v220, -v66
	v_fmac_f16_e64 v173, v43, v64
	v_mul_f16_e64 v64, v169, v222
	v_mul_f16_e64 v66, v169, v73
	s_waitcnt lgkmcnt(1)
	v_lshrrev_b32_e32 v227, 16, v67
	v_fma_f16 v7, v7, v219, -v77
	v_fma_f16 v43, v43, v221, -v75
	v_mul_f16_e64 v75, v176, v224
	v_mul_f16_e64 v77, v176, v80
	v_fmac_f16_e32 v64, v44, v73
	v_fma_f16 v44, v44, v222, -v66
	v_mul_f16_e64 v66, v174, v225
	v_mul_f16_e64 v73, v174, v71
	v_lshrrev_b32_e32 v228, 16, v76
	s_waitcnt lgkmcnt(0)
	v_lshrrev_b32_e32 v229, 16, v61
	v_fmac_f16_e32 v75, v12, v80
	v_fma_f16 v12, v12, v224, -v77
	v_mul_f16_e64 v77, v172, v226
	v_fmac_f16_e32 v66, v13, v71
	v_mul_f16_e64 v71, v172, v78
	v_mul_f16_e64 v80, v170, v227
	v_fma_f16 v13, v13, v225, -v73
	v_mul_f16_e64 v73, v170, v67
	v_lshrrev_b32_e32 v230, 16, v74
	v_lshrrev_b32_e32 v232, 16, v69
	v_fmac_f16_e32 v77, v14, v78
	v_fma_f16 v14, v14, v226, -v71
	v_fmac_f16_e32 v80, v15, v67
	v_mul_f16_e64 v67, v168, v228
	v_mul_f16_e64 v71, v168, v76
	v_fma_f16 v15, v15, v227, -v73
	v_mul_f16_e64 v73, v167, v229
	v_lshrrev_b32_e32 v233, 16, v72
	v_lshrrev_b32_e32 v234, 16, v65
	v_mul_f16_e64 v78, v167, v61
	v_fmac_f16_e32 v67, v45, v76
	v_fma_f16 v45, v45, v228, -v71
	v_mul_f16_e64 v71, v165, v230
	v_fmac_f16_e32 v73, v46, v61
	v_mul_f16_e64 v61, v165, v74
	v_mul_f16_e64 v76, v164, v232
	v_lshrrev_b32_e32 v235, 16, v68
	v_lshrrev_b32_e32 v237, 16, v63
	v_fma_f16 v46, v46, v229, -v78
	v_fmac_f16_e32 v71, v47, v74
	v_mul_f16_e64 v74, v164, v69
	v_mul_f16_e64 v78, v163, v233
	v_fma_f16 v47, v47, v230, -v61
	v_fmac_f16_e32 v76, v8, v69
	v_mul_f16_e64 v61, v163, v72
	v_mul_f16_e64 v69, v161, v234
	v_lshrrev_b32_e32 v238, 16, v62
	v_fmac_f16_e32 v78, v9, v72
	v_mul_f16_e64 v72, v161, v65
	v_fma_f16 v9, v9, v233, -v61
	v_mul_f16_e64 v61, v160, v235
	v_fmac_f16_e32 v69, v10, v65
	v_mul_f16_e64 v65, v158, v237
	v_lshrrev_b32_e32 v54, 16, v216
	v_fma_f16 v8, v8, v232, -v74
	v_mul_f16_e64 v74, v160, v68
	v_fma_f16 v10, v10, v234, -v72
	v_fmac_f16_e32 v61, v11, v68
	v_mul_f16_e64 v68, v158, v63
	v_mul_f16_e64 v72, v157, v238
	v_fmac_f16_e32 v65, v39, v63
	v_mul_f16_e64 v63, v157, v62
	v_fma_f16 v5, v5, v217, -v178
	v_fma_f16 v6, v6, v218, -v177
	v_fmac_f16_e32 v72, v40, v62
	v_sub_f16_e32 v7, v54, v7
	v_fma_f16 v40, v40, v238, -v63
	v_sub_f16_e64 v63, v79, v173
	v_sub_f16_e32 v42, v4, v42
	v_sub_f16_e64 v64, v179, v64
	v_sub_f16_e64 v62, v216, v70
	v_sub_f16_e32 v43, v5, v43
	v_sub_f16_e64 v70, v236, v175
	v_fma_f16 v79, v79, 2.0, -v63
	v_sub_f16_e32 v44, v6, v44
	v_fma_f16 v158, v179, 2.0, -v64
	v_sub_f16_e32 v63, v7, v63
	v_sub_f16_e32 v64, v42, v64
	v_fma_f16 v54, v54, 2.0, -v7
	v_fma_f16 v5, v5, 2.0, -v43
	v_fma_f16 v4, v4, 2.0, -v42
	v_fma_f16 v6, v6, 2.0, -v44
	v_add_f16_e32 v43, v62, v43
	v_add_f16_e32 v44, v70, v44
	v_fma_f16 v7, v7, 2.0, -v63
	v_fma_f16 v42, v42, 2.0, -v64
	v_lshrrev_b32_e32 v239, 16, v215
	v_fma_f16 v39, v39, v237, -v68
	v_fma_f16 v68, v216, 2.0, -v62
	v_fma_f16 v157, v236, 2.0, -v70
	;; [unrolled: 1-line block ×4, first 2 shown]
	v_fma_f16 v161, 0xb9a8, v42, v7
	v_lshrrev_b32_e32 v223, 16, v59
	v_fma_f16 v11, v11, v235, -v74
	v_mul_f16_e64 v74, v156, v239
	v_fma_f16 v160, 0xb9a8, v70, v62
	v_mul_f16_e64 v156, v156, v215
	v_fmac_f16_e64 v161, 0xb9a8, v70
	v_fmamk_f16 v70, v44, 0x39a8, v43
	v_fmac_f16_e64 v74, v41, v215
	v_sub_f16_e32 v80, v59, v80
	v_fma_f16 v41, v41, v239, -v156
	v_fma_f16 v156, 0x39a8, v64, v63
	v_fmac_f16_e32 v70, 0x39a8, v64
	v_sub_f16_e64 v15, v223, v15
	v_sub_f16_e32 v46, v13, v46
	v_sub_f16_e32 v64, v75, v67
	;; [unrolled: 1-line block ×5, first 2 shown]
	v_sub_f16_e64 v158, v157, v158
	v_fmac_f16_e64 v156, 0xb9a8, v44
	v_sub_f16_e32 v44, v66, v73
	v_fma_f16 v67, v223, 2.0, -v15
	v_fma_f16 v13, v13, 2.0, -v46
	v_sub_f16_e32 v71, v77, v71
	v_fma_f16 v12, v12, 2.0, -v45
	v_fma_f16 v14, v14, 2.0, -v47
	v_add_f16_e32 v46, v80, v46
	v_add_f16_e32 v47, v64, v47
	v_fma_f16 v68, v68, 2.0, -v79
	v_fma_f16 v157, v157, 2.0, -v158
	;; [unrolled: 1-line block ×4, first 2 shown]
	v_sub_f16_e32 v13, v67, v13
	v_fma_f16 v75, v77, 2.0, -v71
	v_sub_f16_e32 v44, v15, v44
	v_fma_f16 v77, v80, 2.0, -v46
	v_sub_f16_e32 v71, v45, v71
	v_sub_f16_e32 v14, v12, v14
	v_fma_f16 v64, v64, 2.0, -v47
	v_sub_f16_e32 v5, v54, v5
	v_sub_f16_e64 v157, v68, v157
	v_fma_f16 v59, v59, 2.0, -v80
	v_fma_f16 v67, v67, 2.0, -v13
	;; [unrolled: 1-line block ×5, first 2 shown]
	v_fmamk_f16 v80, v64, 0xb9a8, v77
	v_lshrrev_b32_e32 v231, 16, v60
	v_fmac_f16_e64 v160, 0x39a8, v42
	v_fma_f16 v42, v68, 2.0, -v157
	v_sub_f16_e64 v68, v5, v158
	v_sub_f16_e32 v75, v73, v75
	v_fma_f16 v158, 0xb9a8, v45, v15
	v_sub_f16_e32 v12, v67, v12
	v_fmac_f16_e32 v80, 0x39a8, v45
	v_fma_f16 v45, v63, 2.0, -v156
	v_fma_f16 v73, v73, 2.0, -v75
	v_fmac_f16_e64 v158, 0xb9a8, v64
	v_fma_f16 v63, v67, 2.0, -v12
	v_fma_f16 v64, v77, 2.0, -v80
	v_sub_f16_e32 v67, v13, v75
	v_fmamk_f16 v75, v47, 0x39a8, v46
	v_fmamk_f16 v77, v71, 0x39a8, v44
	v_sub_f16_e32 v61, v60, v61
	v_sub_f16_e64 v11, v231, v11
	v_sub_f16_e32 v40, v9, v40
	v_sub_f16_e32 v39, v8, v39
	;; [unrolled: 1-line block ×3, first 2 shown]
	v_fmac_f16_e32 v75, 0x39a8, v71
	v_fmac_f16_e32 v77, 0xb9a8, v47
	v_fma_f16 v47, v60, 2.0, -v61
	v_sub_f16_e32 v60, v78, v72
	v_sub_f16_e32 v65, v76, v65
	v_fma_f16 v71, v231, 2.0, -v11
	v_fma_f16 v9, v9, 2.0, -v40
	v_sub_f16_e32 v74, v69, v74
	v_fma_f16 v8, v8, 2.0, -v39
	v_fma_f16 v10, v10, 2.0, -v41
	v_sub_f16_e32 v6, v4, v6
	v_fma_f16 v72, v78, 2.0, -v60
	v_sub_f16_e32 v9, v71, v9
	v_fma_f16 v69, v69, 2.0, -v74
	v_add_f16_e32 v40, v61, v40
	v_sub_f16_e32 v60, v11, v60
	v_add_f16_e32 v41, v65, v41
	v_sub_f16_e32 v10, v8, v10
	v_sub_f16_e32 v74, v39, v74
	v_fma_f16 v54, v54, 2.0, -v5
	v_fma_f16 v4, v4, 2.0, -v6
	;; [unrolled: 1-line block ×3, first 2 shown]
	v_sub_f16_e32 v66, v59, v66
	v_fma_f16 v71, v71, 2.0, -v9
	v_fma_f16 v61, v61, 2.0, -v40
	;; [unrolled: 1-line block ×6, first 2 shown]
	v_sub_f16_e32 v4, v54, v4
	v_add_f16_e32 v6, v79, v6
	v_sub_f16_e32 v72, v47, v72
	v_sub_f16_e32 v69, v76, v69
	v_fma_f16 v59, v59, 2.0, -v66
	v_fmamk_f16 v78, v65, 0xb9a8, v61
	v_sub_f16_e32 v8, v71, v8
	v_fma_f16 v163, 0xb9a8, v39, v11
	v_fma_f16 v54, v54, 2.0, -v4
	v_fma_f16 v62, v62, 2.0, -v160
	;; [unrolled: 1-line block ×8, first 2 shown]
	v_sub_f16_e32 v73, v59, v73
	v_fmac_f16_e32 v78, 0x39a8, v39
	v_fma_f16 v39, v71, 2.0, -v8
	v_fmac_f16_e64 v163, 0xb9a8, v65
	v_fmamk_f16 v65, v41, 0x39a8, v40
	v_fmamk_f16 v71, v74, 0x39a8, v60
	v_add_f16_e32 v14, v66, v14
	v_pack_b32_f16 v42, v42, v54
	v_pack_b32_f16 v7, v62, v7
	v_sub_f16_e32 v76, v47, v76
	v_pack_b32_f16 v5, v79, v5
	v_pack_b32_f16 v43, v43, v45
	v_fma_f16 v59, v59, 2.0, -v73
	v_fma_f16 v15, v15, 2.0, -v158
	v_add_f16_e32 v10, v72, v10
	v_sub_f16_e32 v69, v9, v69
	v_fmac_f16_e32 v65, 0x39a8, v74
	v_fmac_f16_e32 v71, 0xb9a8, v41
	v_fma_f16 v66, v66, 2.0, -v14
	v_fma_f16 v13, v13, 2.0, -v67
	;; [unrolled: 1-line block ×4, first 2 shown]
	s_barrier
	buffer_gl0_inv
	ds_store_2addr_b32 v159, v42, v7 offset1:10
	ds_store_2addr_b32 v159, v5, v43 offset0:20 offset1:30
	v_pack_b32_f16 v4, v157, v4
	v_pack_b32_f16 v5, v160, v161
	v_fma_f16 v47, v47, 2.0, -v76
	v_fma_f16 v61, v61, 2.0, -v78
	;; [unrolled: 1-line block ×3, first 2 shown]
	v_pack_b32_f16 v6, v6, v68
	v_pack_b32_f16 v7, v70, v156
	v_fma_f16 v41, v72, 2.0, -v10
	v_fma_f16 v9, v9, 2.0, -v69
	;; [unrolled: 1-line block ×4, first 2 shown]
	v_pack_b32_f16 v42, v59, v63
	v_pack_b32_f16 v15, v64, v15
	;; [unrolled: 1-line block ×6, first 2 shown]
	ds_store_2addr_b32 v159, v4, v5 offset0:40 offset1:50
	ds_store_2addr_b32 v159, v6, v7 offset0:60 offset1:70
	ds_store_2addr_b32 v162, v42, v15 offset1:10
	ds_store_2addr_b32 v162, v13, v43 offset0:20 offset1:30
	ds_store_2addr_b32 v162, v12, v44 offset0:40 offset1:50
	v_pack_b32_f16 v4, v14, v67
	v_pack_b32_f16 v5, v75, v77
	;; [unrolled: 1-line block ×10, first 2 shown]
	ds_store_2addr_b32 v162, v4, v5 offset0:60 offset1:70
	ds_store_2addr_b32 v166, v6, v7 offset1:10
	ds_store_2addr_b32 v166, v9, v11 offset0:20 offset1:30
	ds_store_2addr_b32 v166, v8, v12 offset0:40 offset1:50
	ds_store_2addr_b32 v166, v10, v13 offset0:60 offset1:70
	s_and_saveexec_b32 s0, vcc_lo
	s_cbranch_execz .LBB0_9
; %bb.8:
	v_lshrrev_b32_e32 v7, 16, v58
	v_mul_f16_e64 v8, v149, v58
	v_mul_f16_e64 v4, v147, v51
	;; [unrolled: 1-line block ×5, first 2 shown]
	v_fma_f16 v8, v0, v7, -v8
	v_mul_f16_e64 v12, v152, v52
	v_mul_f16_e64 v13, v151, v50
	;; [unrolled: 1-line block ×4, first 2 shown]
	v_fma_f16 v4, v1, v212, -v4
	v_fma_f16 v5, v37, v154, -v5
	v_mul_f16_e64 v9, v150, v56
	v_fmac_f16_e32 v6, v3, v55
	v_fmac_f16_e32 v10, v2, v52
	v_mul_f16_e64 v15, v151, v153
	v_fma_f16 v2, v2, v213, -v12
	v_fma_f16 v12, v38, v153, -v13
	v_fmac_f16_e32 v7, v0, v58
	v_fmac_f16_e32 v14, v36, v56
	v_mul_f16_e64 v0, v147, v212
	v_mul_f16_e64 v13, v148, v154
	v_sub_f16_e32 v5, v4, v5
	v_fma_f16 v9, v36, v214, -v9
	v_sub_f16_e32 v6, v53, v6
	v_fmac_f16_e32 v15, v38, v50
	v_sub_f16_e32 v12, v2, v12
	v_sub_f16_e32 v14, v7, v14
	v_mul_f16_e64 v36, v146, v55
	v_fmac_f16_e32 v0, v1, v51
	v_fmac_f16_e32 v13, v37, v49
	v_sub_f16_e32 v9, v8, v9
	v_add_f16_e32 v11, v5, v6
	v_sub_f16_e32 v1, v10, v15
	v_add_f16_e32 v15, v12, v14
	v_fma_f16 v3, v3, v57, -v36
	v_sub_f16_e32 v13, v0, v13
	v_fma_f16 v38, v53, 2.0, -v6
	v_sub_f16_e32 v36, v9, v1
	v_fmamk_f16 v37, v15, 0x39a8, v11
	v_sub_f16_e64 v3, v211, v3
	v_fma_f16 v0, v0, 2.0, -v13
	v_fma_f16 v8, v8, 2.0, -v9
	;; [unrolled: 1-line block ×3, first 2 shown]
	v_fmac_f16_e32 v37, 0x39a8, v36
	v_sub_f16_e32 v12, v3, v13
	v_sub_f16_e32 v0, v38, v0
	v_fma_f16 v13, v211, 2.0, -v3
	v_sub_f16_e32 v2, v8, v2
	v_fma_f16 v4, v4, 2.0, -v5
	v_fma_f16 v5, v7, 2.0, -v14
	;; [unrolled: 1-line block ×4, first 2 shown]
	v_fmamk_f16 v10, v36, 0x39a8, v12
	v_add_f16_e32 v39, v0, v2
	v_sub_f16_e32 v4, v13, v4
	v_sub_f16_e32 v1, v5, v1
	v_fma_f16 v6, v6, 2.0, -v11
	v_fma_f16 v11, v14, 2.0, -v15
	;; [unrolled: 1-line block ×4, first 2 shown]
	v_fmac_f16_e32 v10, 0xb9a8, v15
	v_fma_f16 v14, v0, 2.0, -v39
	v_sub_f16_e32 v15, v4, v1
	v_fmamk_f16 v36, v11, 0xb9a8, v6
	v_fma_f16 v0, v38, 2.0, -v0
	v_fma_f16 v1, v5, 2.0, -v1
	;; [unrolled: 1-line block ×4, first 2 shown]
	v_fmamk_f16 v8, v9, 0xb9a8, v3
	v_fmac_f16_e32 v36, 0x39a8, v9
	v_sub_f16_e32 v1, v0, v1
	v_mul_u32_u24_e32 v9, 0x50, v155
	v_sub_f16_e32 v2, v5, v2
	v_fmac_f16_e32 v8, 0xb9a8, v11
	v_fma_f16 v6, v6, 2.0, -v36
	v_fma_f16 v0, v0, 2.0, -v1
	v_or_b32_e32 v9, v9, v145
	v_fma_f16 v5, v5, 2.0, -v2
	v_fma_f16 v3, v3, 2.0, -v8
	v_fma_f16 v4, v4, 2.0, -v15
	v_fma_f16 v11, v12, 2.0, -v10
	v_add_lshl_u32 v9, v144, v9, 2
	v_pack_b32_f16 v0, v0, v5
	v_pack_b32_f16 v3, v6, v3
	;; [unrolled: 1-line block ×8, first 2 shown]
	ds_store_2addr_b32 v9, v0, v3 offset1:10
	ds_store_2addr_b32 v9, v4, v5 offset0:20 offset1:30
	ds_store_2addr_b32 v9, v1, v2 offset0:40 offset1:50
	;; [unrolled: 1-line block ×3, first 2 shown]
.LBB0_9:
	s_or_b32 exec_lo, exec_lo, s0
	v_add_nc_u32_e32 v2, 0x200, v114
	v_add_nc_u32_e32 v36, 0x400, v114
	s_waitcnt lgkmcnt(0)
	s_barrier
	buffer_gl0_inv
	ds_load_b32 v15, v143
	ds_load_2addr_b32 v[5:6], v114 offset0:80 offset1:96
	ds_load_2addr_b32 v[7:8], v114 offset0:144 offset1:160
	;; [unrolled: 1-line block ×13, first 2 shown]
	ds_load_b32 v47, v114 offset:1856
	ds_load_2addr_b32 v[53:54], v36 offset0:112 offset1:128
	s_mov_b32 s8, 0x11111111
	s_mov_b32 s9, 0x3f611111
	s_waitcnt lgkmcnt(15)
	v_lshrrev_b32_e32 v55, 16, v15
	s_waitcnt lgkmcnt(14)
	v_lshrrev_b32_e32 v56, 16, v5
	;; [unrolled: 2-line block ×4, first 2 shown]
	v_mul_f16_e64 v146, v187, v5
	s_waitcnt lgkmcnt(11)
	v_lshrrev_b32_e32 v59, 16, v12
	v_mul_f16_e64 v144, v187, v56
	v_mul_f16_e64 v148, v189, v57
	s_waitcnt lgkmcnt(10)
	v_lshrrev_b32_e32 v60, 16, v13
	v_lshrrev_b32_e32 v62, 16, v6
	s_waitcnt lgkmcnt(8)
	v_lshrrev_b32_e32 v63, 16, v39
	v_fmac_f16_e64 v144, v20, v5
	v_mul_f16_e64 v5, v189, v8
	v_fma_f16 v20, v20, v56, -v146
	v_mul_f16_e64 v56, v186, v58
	v_fmac_f16_e64 v148, v21, v8
	v_mul_f16_e64 v8, v186, v9
	v_fma_f16 v5, v21, v57, -v5
	v_mul_f16_e64 v21, v188, v59
	v_fmac_f16_e32 v56, v22, v9
	v_mul_f16_e64 v9, v188, v12
	v_fma_f16 v8, v22, v58, -v8
	v_mul_f16_e64 v22, v185, v60
	v_lshrrev_b32_e32 v64, 16, v10
	v_fmac_f16_e32 v21, v23, v12
	v_mul_f16_e64 v12, v185, v13
	v_fma_f16 v9, v23, v59, -v9
	v_mul_f16_e64 v23, v184, v62
	v_fmac_f16_e64 v22, v181, v13
	v_mul_f16_e64 v13, v184, v6
	v_mul_f16_e64 v57, v191, v63
	s_waitcnt lgkmcnt(7)
	v_lshrrev_b32_e32 v65, 16, v41
	v_lshrrev_b32_e32 v66, 16, v14
	v_fmac_f16_e32 v23, v16, v6
	v_mul_f16_e64 v6, v191, v39
	v_fma_f16 v13, v16, v62, -v13
	v_mul_f16_e64 v16, v182, v64
	v_fmac_f16_e32 v57, v17, v39
	v_mul_f16_e64 v39, v182, v10
	s_waitcnt lgkmcnt(6)
	v_lshrrev_b32_e32 v68, 16, v43
	v_lshrrev_b32_e32 v69, 16, v40
	v_fma_f16 v6, v17, v63, -v6
	v_mul_f16_e64 v17, v190, v65
	v_fmac_f16_e32 v16, v18, v10
	v_mul_f16_e64 v10, v190, v41
	v_fma_f16 v18, v18, v64, -v39
	v_mul_f16_e64 v39, v183, v66
	s_waitcnt lgkmcnt(4)
	v_lshrrev_b32_e32 v70, 16, v45
	v_fmac_f16_e32 v17, v19, v41
	v_mul_f16_e64 v41, v183, v14
	v_fma_f16 v10, v19, v65, -v10
	v_mul_f16_e64 v19, v197, v68
	v_fmac_f16_e64 v39, v180, v14
	v_mul_f16_e64 v14, v197, v43
	v_mul_f16_e64 v58, v194, v69
	v_lshrrev_b32_e32 v71, 16, v42
	s_waitcnt lgkmcnt(2)
	v_lshrrev_b32_e32 v72, 16, v51
	v_fmac_f16_e32 v19, v24, v43
	v_mul_f16_e64 v43, v194, v40
	v_fma_f16 v14, v24, v68, -v14
	v_mul_f16_e64 v24, v196, v70
	v_fmac_f16_e32 v58, v25, v40
	v_mul_f16_e64 v40, v196, v45
	v_lshrrev_b32_e32 v73, 16, v44
	v_lshrrev_b32_e32 v74, 16, v49
	v_fma_f16 v25, v25, v69, -v43
	v_mul_f16_e64 v43, v193, v71
	v_fmac_f16_e32 v24, v26, v45
	v_mul_f16_e64 v45, v193, v42
	v_fma_f16 v26, v26, v70, -v40
	v_mul_f16_e64 v40, v195, v72
	v_lshrrev_b32_e32 v75, 16, v46
	v_fmac_f16_e32 v43, v27, v42
	v_mul_f16_e64 v42, v195, v51
	v_fma_f16 v27, v27, v71, -v45
	v_mul_f16_e64 v45, v207, v73
	v_fmac_f16_e64 v40, v192, v51
	v_mul_f16_e64 v51, v207, v44
	v_mul_f16_e64 v59, v209, v74
	s_waitcnt lgkmcnt(0)
	v_lshrrev_b32_e32 v76, 16, v53
	v_lshrrev_b32_e32 v77, 16, v52
	v_fmac_f16_e32 v45, v32, v44
	v_mul_f16_e64 v44, v209, v49
	v_fma_f16 v32, v32, v73, -v51
	v_mul_f16_e64 v51, v205, v75
	v_fmac_f16_e32 v59, v33, v49
	v_mul_f16_e64 v49, v205, v46
	v_lshrrev_b32_e32 v78, 16, v7
	v_fma_f16 v33, v33, v74, -v44
	v_mul_f16_e64 v44, v210, v76
	v_fmac_f16_e32 v51, v34, v46
	v_mul_f16_e64 v46, v210, v53
	v_fma_f16 v34, v34, v75, -v49
	v_mul_f16_e64 v49, v200, v77
	v_lshrrev_b32_e32 v79, 16, v50
	v_lshrrev_b32_e32 v80, 16, v11
	v_fmac_f16_e32 v44, v35, v53
	v_mul_f16_e64 v53, v200, v52
	v_fma_f16 v35, v35, v76, -v46
	v_mul_f16_e64 v46, v201, v78
	v_fmac_f16_e64 v49, v199, v52
	v_mul_f16_e64 v52, v201, v7
	v_lshrrev_b32_e32 v145, 16, v54
	v_fma_f16 v12, v181, v60, -v12
	v_mul_f16_e64 v60, v203, v79
	v_fmac_f16_e32 v46, v28, v7
	v_mul_f16_e64 v7, v203, v50
	v_fma_f16 v28, v28, v78, -v52
	v_mul_f16_e64 v52, v202, v80
	v_lshrrev_b32_e32 v147, 16, v47
	v_fmac_f16_e32 v60, v29, v50
	v_mul_f16_e64 v50, v202, v11
	v_fma_f16 v7, v29, v79, -v7
	v_mul_f16_e64 v29, v204, v145
	v_fmac_f16_e32 v52, v30, v11
	v_mul_f16_e64 v11, v204, v54
	v_fma_f16 v30, v30, v80, -v50
	v_mul_f16_e64 v50, v206, v147
	v_fmac_f16_e32 v29, v31, v54
	v_mul_f16_e64 v54, v206, v47
	v_fma_f16 v11, v31, v145, -v11
	v_add_f16_e64 v31, v148, v21
	v_fmac_f16_e64 v50, v198, v47
	v_add_f16_e64 v47, v15, v148
	v_add_f16_e32 v62, v5, v9
	v_add_f16_e32 v63, v56, v22
	v_fmac_f16_e32 v15, -0.5, v31
	v_sub_f16_e32 v31, v5, v9
	v_add_f16_e32 v5, v55, v5
	v_fmac_f16_e32 v55, -0.5, v62
	v_add_f16_e32 v47, v47, v21
	v_sub_f16_e64 v21, v148, v21
	v_fmamk_f16 v62, v31, 0xbaee, v15
	v_fmac_f16_e32 v15, 0x3aee, v31
	v_add_f16_e32 v31, v8, v12
	v_add_f16_e32 v64, v20, v8
	;; [unrolled: 1-line block ×3, first 2 shown]
	v_fmamk_f16 v9, v21, 0x3aee, v55
	v_sub_f16_e32 v8, v8, v12
	v_fmac_f16_e32 v20, -0.5, v31
	v_sub_f16_e32 v31, v56, v22
	v_add_f16_e64 v56, v144, v56
	v_fmac_f16_e64 v144, -0.5, v63
	v_fmac_f16_e32 v55, 0xbaee, v21
	v_add_f16_e32 v12, v64, v12
	v_fmamk_f16 v21, v31, 0x3aee, v20
	v_fmac_f16_e32 v20, 0xbaee, v31
	v_fma_f16 v31, 0xbaee, v8, v144
	v_fmac_f16_e64 v144, 0x3aee, v8
	v_add_f16_e32 v22, v56, v22
	v_mul_f16_e32 v8, 0xbaee, v21
	v_mul_f16_e32 v21, 0.5, v21
	v_add_f16_e32 v65, v5, v12
	v_sub_f16_e32 v5, v5, v12
	v_add_f16_e32 v12, v57, v17
	v_lshrrev_b32_e32 v61, 16, v37
	v_fmac_f16_e32 v21, 0x3aee, v31
	v_fma_f16 v41, v180, v66, -v41
	v_mul_f16_e32 v56, 0xbaee, v20
	v_mul_f16_e32 v20, -0.5, v20
	v_add_f16_e32 v63, v47, v22
	v_add_f16_e32 v66, v9, v21
	v_sub_f16_e32 v22, v47, v22
	v_sub_f16_e32 v9, v9, v21
	v_add_f16_e32 v21, v37, v57
	v_add_f16_e32 v47, v6, v10
	v_fma_f16 v12, -0.5, v12, v37
	v_sub_f16_e32 v37, v6, v10
	v_fmac_f16_e64 v56, -0.5, v144
	v_fmac_f16_e64 v20, 0x3aee, v144
	v_add_f16_e32 v6, v61, v6
	v_fmac_f16_e32 v61, -0.5, v47
	v_fmamk_f16 v47, v37, 0xbaee, v12
	v_fmac_f16_e32 v12, 0x3aee, v37
	v_add_f16_e32 v37, v18, v41
	v_add_f16_e32 v64, v15, v56
	;; [unrolled: 1-line block ×3, first 2 shown]
	v_sub_f16_e32 v15, v15, v56
	v_sub_f16_e32 v20, v55, v20
	v_add_f16_e32 v21, v21, v17
	v_sub_f16_e32 v17, v57, v17
	v_add_f16_e32 v55, v16, v39
	v_add_f16_e32 v56, v13, v18
	v_fmac_f16_e32 v13, -0.5, v37
	v_sub_f16_e32 v37, v16, v39
	v_add_f16_e32 v6, v6, v10
	v_fmamk_f16 v10, v17, 0x3aee, v61
	v_add_f16_e32 v16, v23, v16
	v_fmac_f16_e32 v23, -0.5, v55
	v_sub_f16_e32 v18, v18, v41
	v_fmac_f16_e32 v61, 0xbaee, v17
	v_fmamk_f16 v17, v37, 0x3aee, v13
	v_fmac_f16_e32 v13, 0xbaee, v37
	v_add_f16_e32 v16, v16, v39
	v_fmamk_f16 v37, v18, 0xbaee, v23
	v_fmac_f16_e32 v23, 0x3aee, v18
	v_mul_f16_e32 v18, 0xbaee, v17
	v_mul_f16_e32 v17, 0.5, v17
	v_mul_f16_e32 v39, 0xbaee, v13
	v_add_f16_e32 v55, v21, v16
	v_sub_f16_e32 v16, v21, v16
	v_add_f16_e32 v21, v58, v43
	v_fmac_f16_e32 v17, 0x3aee, v37
	v_lshrrev_b32_e32 v67, 16, v38
	v_fma_f16 v42, v192, v72, -v42
	v_add_f16_e32 v41, v56, v41
	v_fmac_f16_e32 v39, -0.5, v23
	v_add_f16_e32 v57, v10, v17
	v_sub_f16_e32 v10, v10, v17
	v_add_f16_e32 v17, v38, v58
	v_fmac_f16_e32 v38, -0.5, v21
	v_sub_f16_e32 v21, v25, v27
	v_mul_f16_e32 v13, -0.5, v13
	v_fmac_f16_e32 v18, 0.5, v37
	v_add_f16_e32 v37, v12, v39
	v_add_f16_e32 v56, v6, v41
	v_sub_f16_e32 v12, v12, v39
	v_sub_f16_e32 v6, v6, v41
	v_add_f16_e32 v39, v25, v27
	v_fmamk_f16 v41, v21, 0xbaee, v38
	v_fmac_f16_e32 v38, 0x3aee, v21
	v_add_f16_e32 v21, v26, v42
	v_fmac_f16_e32 v13, 0x3aee, v23
	v_add_f16_e32 v23, v47, v18
	v_sub_f16_e32 v18, v47, v18
	v_add_f16_e32 v17, v17, v43
	v_add_f16_e32 v25, v67, v25
	v_fmac_f16_e32 v67, -0.5, v39
	v_sub_f16_e32 v39, v58, v43
	v_add_f16_e32 v43, v24, v40
	v_add_f16_e32 v47, v14, v26
	v_fmac_f16_e32 v14, -0.5, v21
	v_sub_f16_e32 v21, v24, v40
	v_add_f16_e32 v25, v25, v27
	v_fmamk_f16 v27, v39, 0x3aee, v67
	v_add_f16_e32 v24, v19, v24
	v_fmac_f16_e32 v19, -0.5, v43
	v_sub_f16_e32 v26, v26, v42
	v_fmac_f16_e32 v67, 0xbaee, v39
	v_fmamk_f16 v39, v21, 0x3aee, v14
	v_fmac_f16_e32 v14, 0xbaee, v21
	v_add_f16_e32 v21, v24, v40
	v_fmamk_f16 v24, v26, 0xbaee, v19
	v_fmac_f16_e32 v19, 0x3aee, v26
	v_mul_f16_e32 v26, 0xbaee, v39
	v_mul_f16_e32 v40, 0xbaee, v14
	v_mul_f16_e32 v39, 0.5, v39
	v_mul_f16_e32 v14, -0.5, v14
	v_add_f16_e32 v43, v17, v21
	v_fmac_f16_e32 v26, 0.5, v24
	v_fmac_f16_e32 v40, -0.5, v19
	v_fmac_f16_e32 v39, 0x3aee, v24
	v_fmac_f16_e32 v14, 0x3aee, v19
	v_sub_f16_e32 v17, v17, v21
	v_add_f16_e32 v19, v41, v26
	v_add_f16_e32 v24, v38, v40
	v_sub_f16_e32 v21, v41, v26
	v_sub_f16_e32 v26, v38, v40
	v_add_f16_e32 v38, v59, v44
	v_lshrrev_b32_e32 v4, 16, v0
	v_fma_f16 v53, v199, v77, -v53
	v_add_f16_e32 v58, v27, v39
	v_sub_f16_e32 v27, v27, v39
	v_add_f16_e32 v39, v0, v59
	v_fma_f16 v0, -0.5, v38, v0
	v_sub_f16_e32 v38, v33, v35
	v_add_f16_e32 v42, v47, v42
	v_add_f16_e32 v40, v33, v35
	;; [unrolled: 1-line block ×4, first 2 shown]
	v_fmamk_f16 v41, v38, 0xbaee, v0
	v_fmac_f16_e32 v0, 0x3aee, v38
	v_add_f16_e32 v38, v34, v53
	v_add_f16_e32 v47, v25, v42
	v_sub_f16_e32 v25, v25, v42
	v_fmac_f16_e32 v4, -0.5, v40
	v_sub_f16_e32 v40, v59, v44
	v_add_f16_e32 v42, v51, v49
	v_add_f16_e32 v44, v32, v34
	v_fmac_f16_e32 v32, -0.5, v38
	v_sub_f16_e32 v38, v51, v49
	v_add_f16_e32 v33, v33, v35
	v_fmamk_f16 v35, v40, 0x3aee, v4
	v_add_f16_e32 v51, v45, v51
	v_fmac_f16_e32 v45, -0.5, v42
	v_sub_f16_e32 v34, v34, v53
	v_fmac_f16_e32 v4, 0xbaee, v40
	v_fmamk_f16 v40, v38, 0x3aee, v32
	v_fmac_f16_e32 v32, 0xbaee, v38
	v_add_f16_e32 v38, v51, v49
	v_fmamk_f16 v42, v34, 0xbaee, v45
	v_fmac_f16_e32 v45, 0x3aee, v34
	v_mul_f16_e32 v34, 0xbaee, v40
	v_mul_f16_e32 v49, 0xbaee, v32
	v_mul_f16_e32 v40, 0.5, v40
	v_mul_f16_e32 v32, -0.5, v32
	v_fmac_f16_e32 v8, 0.5, v31
	v_add_f16_e32 v51, v39, v38
	v_sub_f16_e32 v38, v39, v38
	v_fmac_f16_e32 v40, 0x3aee, v42
	v_fmac_f16_e32 v32, 0x3aee, v45
	v_add_f16_e32 v39, v60, v29
	v_lshrrev_b32_e32 v3, 16, v1
	v_fma_f16 v54, v198, v147, -v54
	v_add_f16_e32 v31, v62, v8
	v_sub_f16_e32 v8, v62, v8
	v_add_f16_e32 v62, v61, v13
	v_sub_f16_e32 v13, v61, v13
	;; [unrolled: 2-line block ×3, first 2 shown]
	v_add_f16_e32 v59, v35, v40
	v_add_f16_e32 v67, v4, v32
	v_sub_f16_e32 v35, v35, v40
	v_add_f16_e32 v40, v1, v60
	v_sub_f16_e32 v4, v4, v32
	v_add_f16_e32 v32, v7, v11
	v_fmac_f16_e32 v1, -0.5, v39
	v_sub_f16_e32 v39, v7, v11
	v_add_f16_e32 v44, v44, v53
	v_fmac_f16_e32 v34, 0.5, v42
	v_add_f16_e32 v7, v3, v7
	v_fmac_f16_e32 v3, -0.5, v32
	v_fmamk_f16 v32, v39, 0xbaee, v1
	v_fmac_f16_e32 v1, 0x3aee, v39
	v_add_f16_e32 v39, v30, v54
	v_fmac_f16_e32 v49, -0.5, v45
	v_add_f16_e32 v42, v41, v34
	v_add_f16_e32 v53, v33, v44
	v_sub_f16_e32 v34, v41, v34
	v_sub_f16_e32 v33, v33, v44
	v_add_f16_e32 v40, v40, v29
	v_sub_f16_e32 v29, v60, v29
	v_add_f16_e32 v41, v52, v50
	v_add_f16_e32 v44, v28, v30
	v_fmac_f16_e32 v28, -0.5, v39
	v_sub_f16_e32 v39, v52, v50
	v_add_f16_e32 v45, v0, v49
	v_sub_f16_e32 v0, v0, v49
	v_add_f16_e32 v7, v7, v11
	v_fmamk_f16 v11, v29, 0x3aee, v3
	v_add_f16_e32 v49, v46, v52
	v_fmac_f16_e32 v46, -0.5, v41
	v_sub_f16_e32 v30, v30, v54
	v_fmac_f16_e32 v3, 0xbaee, v29
	v_fmamk_f16 v29, v39, 0x3aee, v28
	v_fmac_f16_e32 v28, 0xbaee, v39
	v_add_f16_e32 v39, v49, v50
	v_fmamk_f16 v41, v30, 0xbaee, v46
	v_fmac_f16_e32 v46, 0x3aee, v30
	v_mul_f16_e32 v30, 0xbaee, v29
	v_mul_f16_e32 v49, 0xbaee, v28
	v_mul_f16_e32 v28, -0.5, v28
	v_mul_f16_e32 v29, 0.5, v29
	v_pack_b32_f16 v5, v22, v5
	v_fmac_f16_e32 v30, 0.5, v41
	v_pack_b32_f16 v22, v23, v57
	v_fmac_f16_e32 v28, 0x3aee, v46
	v_fmac_f16_e32 v29, 0x3aee, v41
	v_pack_b32_f16 v8, v8, v9
	v_add_f16_e32 v41, v32, v30
	v_sub_f16_e32 v30, v32, v30
	v_add_f16_e32 v60, v3, v28
	v_pack_b32_f16 v32, v63, v65
	v_sub_f16_e32 v3, v3, v28
	v_pack_b32_f16 v28, v31, v66
	v_pack_b32_f16 v9, v15, v20
	v_pack_b32_f16 v6, v16, v6
	v_pack_b32_f16 v12, v12, v13
	v_add_f16_e32 v44, v44, v54
	v_pack_b32_f16 v15, v55, v56
	v_pack_b32_f16 v13, v43, v47
	ds_store_b32 v143, v32
	ds_store_2addr_b32 v114, v28, v22 offset0:80 offset1:96
	v_pack_b32_f16 v16, v37, v62
	ds_store_2addr_b32 v2, v5, v6 offset0:112 offset1:128
	v_pack_b32_f16 v5, v18, v10
	v_pack_b32_f16 v6, v24, v61
	ds_store_2addr_b32 v36, v9, v12 offset0:144 offset1:160
	ds_store_2addr_b32 v114, v15, v13 offset0:16 offset1:32
	v_pack_b32_f16 v9, v21, v27
	v_fmac_f16_e32 v49, -0.5, v46
	v_add_f16_e32 v50, v40, v39
	v_add_f16_e32 v52, v7, v44
	;; [unrolled: 1-line block ×3, first 2 shown]
	v_pack_b32_f16 v10, v19, v58
	ds_store_2addr_b32 v114, v16, v6 offset0:176 offset1:192
	v_pack_b32_f16 v6, v17, v25
	v_pack_b32_f16 v12, v42, v59
	ds_store_2addr_b32 v36, v5, v9 offset0:80 offset1:96
	v_pack_b32_f16 v5, v26, v14
	v_pack_b32_f16 v13, v38, v33
	;; [unrolled: 1-line block ×3, first 2 shown]
	v_add_f16_e32 v46, v1, v49
	v_pack_b32_f16 v9, v51, v53
	v_pack_b32_f16 v4, v50, v52
	v_sub_f16_e32 v39, v40, v39
	v_sub_f16_e32 v7, v7, v44
	;; [unrolled: 1-line block ×4, first 2 shown]
	v_pack_b32_f16 v29, v64, v68
	ds_store_2addr_b32 v114, v10, v12 offset0:112 offset1:128
	ds_store_2addr_b32 v36, v6, v13 offset0:16 offset1:32
	;; [unrolled: 1-line block ×4, first 2 shown]
	v_pack_b32_f16 v0, v41, v54
	v_pack_b32_f16 v10, v45, v67
	;; [unrolled: 1-line block ×7, first 2 shown]
	ds_store_2addr_b32 v114, v0, v29 offset0:144 offset1:160
	ds_store_2addr_b32 v114, v10, v4 offset0:208 offset1:224
	;; [unrolled: 1-line block ×4, first 2 shown]
	ds_store_b32 v114, v1 offset:1856
	s_waitcnt lgkmcnt(0)
	s_barrier
	buffer_gl0_inv
	ds_load_b32 v0, v143
	ds_load_b32 v17, v114 offset:1856
	ds_load_2addr_b32 v[14:15], v114 offset0:48 offset1:64
	s_waitcnt lgkmcnt(2)
	v_lshrrev_b32_e32 v1, 16, v0
	s_waitcnt lgkmcnt(0)
	v_lshrrev_b32_e32 v7, 16, v14
	v_mul_f16_e64 v12, v141, v14
	s_delay_alu instid0(VALU_DEP_3) | instskip(NEXT) | instid1(VALU_DEP_3)
	v_mul_f16_e64 v3, v142, v1
	v_mul_f16_e64 v5, v141, v7
	s_delay_alu instid0(VALU_DEP_3) | instskip(NEXT) | instid1(VALU_DEP_3)
	v_fma_f16 v7, v135, v7, -v12
	v_fmac_f16_e32 v3, v127, v0
	v_mul_f16_e64 v0, v142, v0
	s_delay_alu instid0(VALU_DEP_4) | instskip(NEXT) | instid1(VALU_DEP_4)
	v_fmac_f16_e64 v5, v135, v14
	v_cvt_f32_f16_e32 v7, v7
	s_delay_alu instid0(VALU_DEP_4) | instskip(NEXT) | instid1(VALU_DEP_4)
	v_cvt_f32_f16_e32 v3, v3
	v_fma_f16 v0, v127, v1, -v0
	s_delay_alu instid0(VALU_DEP_4) | instskip(NEXT) | instid1(VALU_DEP_3)
	v_cvt_f32_f16_e32 v5, v5
	v_cvt_f64_f32_e32 v[3:4], v3
	s_delay_alu instid0(VALU_DEP_3) | instskip(NEXT) | instid1(VALU_DEP_3)
	v_cvt_f32_f16_e32 v0, v0
	v_cvt_f64_f32_e32 v[5:6], v5
	s_delay_alu instid0(VALU_DEP_2) | instskip(NEXT) | instid1(VALU_DEP_4)
	v_cvt_f64_f32_e32 v[0:1], v0
	v_mul_f64 v[3:4], v[3:4], s[8:9]
	s_delay_alu instid0(VALU_DEP_2) | instskip(NEXT) | instid1(VALU_DEP_2)
	v_mul_f64 v[0:1], v[0:1], s[8:9]
	v_and_or_b32 v3, 0x1ff, v4, v3
	v_lshrrev_b32_e32 v8, 8, v4
	v_bfe_u32 v9, v4, 20, 11
	s_delay_alu instid0(VALU_DEP_3)
	v_cmp_ne_u32_e32 vcc_lo, 0, v3
	v_and_or_b32 v0, 0x1ff, v1, v0
	v_lshrrev_b32_e32 v13, 8, v1
	v_bfe_u32 v14, v1, 20, 11
	v_lshrrev_b32_e32 v1, 16, v1
	v_cndmask_b32_e64 v3, 0, 1, vcc_lo
	v_cmp_ne_u32_e32 vcc_lo, 0, v0
	s_delay_alu instid0(VALU_DEP_2) | instskip(SKIP_2) | instid1(VALU_DEP_3)
	v_and_or_b32 v3, 0xffe, v8, v3
	v_sub_nc_u32_e32 v8, 0x3f1, v9
	v_cndmask_b32_e64 v0, 0, 1, vcc_lo
	v_or_b32_e32 v10, 0x1000, v3
	s_delay_alu instid0(VALU_DEP_3) | instskip(NEXT) | instid1(VALU_DEP_3)
	v_med3_i32 v8, v8, 0, 13
	v_and_or_b32 v16, 0xffe, v13, v0
	v_sub_nc_u32_e32 v0, 0x3f1, v14
	v_add_nc_u32_e32 v14, 0xfffffc10, v14
	v_mad_u64_u32 v[12:13], null, s6, v48, 0
	v_lshrrev_b32_e32 v11, v8, v10
	v_or_b32_e32 v18, 0x1000, v16
	v_med3_i32 v0, v0, 0, 13
	s_delay_alu instid0(VALU_DEP_3) | instskip(NEXT) | instid1(VALU_DEP_2)
	v_lshlrev_b32_e32 v8, v8, v11
	v_lshrrev_b32_e32 v19, v0, v18
	s_delay_alu instid0(VALU_DEP_2) | instskip(SKIP_1) | instid1(VALU_DEP_3)
	v_cmp_ne_u32_e32 vcc_lo, v8, v10
	v_cvt_f64_f32_e32 v[7:8], v7
	v_lshlrev_b32_e32 v0, v0, v19
	v_cndmask_b32_e64 v10, 0, 1, vcc_lo
	s_delay_alu instid0(VALU_DEP_1) | instskip(SKIP_1) | instid1(VALU_DEP_1)
	v_or_b32_e32 v10, v11, v10
	v_add_nc_u32_e32 v9, 0xfffffc10, v9
	v_lshl_or_b32 v11, v9, 12, v3
	v_cmp_gt_i32_e32 vcc_lo, 1, v9
	s_delay_alu instid0(VALU_DEP_2) | instskip(SKIP_2) | instid1(VALU_DEP_3)
	v_cndmask_b32_e32 v20, v11, v10, vcc_lo
	v_mul_f64 v[10:11], v[5:6], s[8:9]
	v_cmp_ne_u32_e32 vcc_lo, v0, v18
	v_and_b32_e32 v5, 7, v20
	v_lshrrev_b32_e32 v18, 2, v20
	v_cndmask_b32_e64 v0, 0, 1, vcc_lo
	s_delay_alu instid0(VALU_DEP_3) | instskip(SKIP_1) | instid1(VALU_DEP_3)
	v_cmp_lt_i32_e32 vcc_lo, 5, v5
	v_cmp_eq_u32_e64 s0, 3, v5
	v_or_b32_e32 v0, v19, v0
	v_lshl_or_b32 v19, v14, 12, v16
	ds_load_2addr_b32 v[5:6], v114 offset0:80 offset1:96
	s_or_b32 vcc_lo, s0, vcc_lo
	v_mul_f64 v[7:8], v[7:8], s[8:9]
	v_add_co_ci_u32_e32 v18, vcc_lo, 0, v18, vcc_lo
	v_cmp_ne_u32_e32 vcc_lo, 0, v3
	v_cndmask_b32_e64 v3, 0, 1, vcc_lo
	v_cmp_gt_i32_e32 vcc_lo, 1, v14
	s_delay_alu instid0(VALU_DEP_2) | instskip(SKIP_4) | instid1(VALU_DEP_3)
	v_lshl_or_b32 v3, v3, 9, 0x7c00
	v_cndmask_b32_e32 v19, v19, v0, vcc_lo
	v_cmp_gt_i32_e32 vcc_lo, 31, v9
	s_waitcnt lgkmcnt(0)
	v_lshrrev_b32_e32 v21, 16, v6
	v_and_b32_e32 v20, 7, v19
	v_cndmask_b32_e32 v18, 0x7c00, v18, vcc_lo
	v_cmp_eq_u32_e32 vcc_lo, 0x40f, v9
	v_bfe_u32 v22, v11, 20, 11
	s_delay_alu instid0(VALU_DEP_4) | instskip(NEXT) | instid1(VALU_DEP_4)
	v_cmp_eq_u32_e64 s0, 3, v20
	v_cndmask_b32_e32 v9, v18, v3, vcc_lo
	v_cmp_lt_i32_e32 vcc_lo, 5, v20
	v_lshrrev_b32_e32 v3, 2, v19
	v_lshrrev_b32_e32 v20, 16, v4
	v_and_or_b32 v4, 0x1ff, v11, v10
	v_mul_f16_e64 v10, v140, v21
	s_or_b32 vcc_lo, s0, vcc_lo
	v_sub_nc_u32_e32 v18, 0x3f1, v22
	v_add_co_ci_u32_e32 v3, vcc_lo, 0, v3, vcc_lo
	v_cmp_ne_u32_e32 vcc_lo, 0, v16
	v_mov_b32_e32 v0, v13
	v_lshrrev_b32_e32 v16, 8, v11
	v_fmac_f16_e64 v10, v131, v6
	v_med3_i32 v24, v18, 0, 13
	v_cndmask_b32_e64 v13, 0, 1, vcc_lo
	v_cmp_ne_u32_e32 vcc_lo, 0, v4
	v_mad_u64_u32 v[18:19], null, s4, v121, 0
	v_cvt_f32_f16_e32 v10, v10
	s_delay_alu instid0(VALU_DEP_4)
	v_lshl_or_b32 v13, v13, 9, 0x7c00
	v_cndmask_b32_e64 v4, 0, 1, vcc_lo
	v_cmp_gt_i32_e32 vcc_lo, 31, v14
	v_and_or_b32 v7, 0x1ff, v8, v7
	v_and_or_b32 v9, 0x8000, v20, v9
	v_add_nc_u32_e32 v22, 0xfffffc10, v22
	v_and_or_b32 v16, 0xffe, v16, v4
	v_cndmask_b32_e32 v3, 0x7c00, v3, vcc_lo
	v_cmp_eq_u32_e32 vcc_lo, 0x40f, v14
	v_mul_f16_e64 v6, v140, v6
	v_lshrrev_b32_e32 v11, 16, v11
	s_delay_alu instid0(VALU_DEP_4) | instskip(SKIP_3) | instid1(VALU_DEP_4)
	v_cndmask_b32_e32 v23, v3, v13, vcc_lo
	v_cvt_f64_f32_e32 v[3:4], v10
	v_or_b32_e32 v10, 0x1000, v16
	v_mad_u64_u32 v[13:14], null, s7, v48, v[0:1]
	v_and_or_b32 v20, 0x8000, v1, v23
	v_cmp_ne_u32_e32 vcc_lo, 0, v7
	s_delay_alu instid0(VALU_DEP_4)
	v_lshrrev_b32_e32 v14, v24, v10
	v_mov_b32_e32 v0, v19
	v_lshrrev_b32_e32 v19, 8, v8
	v_bfe_u32 v23, v8, 20, 11
	v_cndmask_b32_e64 v7, 0, 1, vcc_lo
	v_lshlrev_b32_e32 v1, v24, v14
	v_fma_f16 v6, v131, v21, -v6
	v_lshrrev_b32_e32 v8, 16, v8
	s_delay_alu instid0(VALU_DEP_4) | instskip(NEXT) | instid1(VALU_DEP_4)
	v_and_or_b32 v24, 0xffe, v19, v7
	v_cmp_ne_u32_e32 vcc_lo, v1, v10
	v_sub_nc_u32_e32 v7, 0x3f1, v23
	v_lshl_or_b32 v10, v22, 12, v16
	v_cndmask_b32_e64 v1, 0, 1, vcc_lo
	s_delay_alu instid0(VALU_DEP_3) | instskip(SKIP_1) | instid1(VALU_DEP_3)
	v_med3_i32 v19, v7, 0, 13
	v_cmp_gt_i32_e32 vcc_lo, 1, v22
	v_or_b32_e32 v1, v14, v1
	v_or_b32_e32 v14, 0x1000, v24
	s_delay_alu instid0(VALU_DEP_2) | instskip(NEXT) | instid1(VALU_DEP_2)
	v_cndmask_b32_e32 v21, v10, v1, vcc_lo
	v_lshrrev_b32_e32 v25, v19, v14
	v_cvt_f32_f16_e32 v1, v6
	s_delay_alu instid0(VALU_DEP_3) | instskip(NEXT) | instid1(VALU_DEP_3)
	v_and_b32_e32 v26, 7, v21
	v_lshlrev_b32_e32 v27, v19, v25
	s_delay_alu instid0(VALU_DEP_3) | instskip(SKIP_2) | instid1(VALU_DEP_4)
	v_mad_u64_u32 v[6:7], null, s5, v121, v[0:1]
	v_cvt_f64_f32_e32 v[0:1], v1
	v_and_b32_e32 v7, 0xffff, v9
	v_cmp_ne_u32_e64 s0, v27, v14
	v_mul_f64 v[3:4], v[3:4], s[8:9]
	v_cmp_lt_i32_e32 vcc_lo, 5, v26
	ds_load_2addr_b32 v[9:10], v114 offset0:144 offset1:160
	v_mov_b32_e32 v19, v6
	v_cndmask_b32_e64 v14, 0, 1, s0
	v_cmp_eq_u32_e64 s0, 3, v26
	v_lshl_or_b32 v20, v20, 16, v7
	v_lshlrev_b64 v[6:7], 2, v[12:13]
	v_lshrrev_b32_e32 v12, 2, v21
	v_or_b32_e32 v13, v25, v14
	s_or_b32 vcc_lo, s0, vcc_lo
	v_add_nc_u32_e32 v23, 0xfffffc10, v23
	s_delay_alu instid0(VALU_DEP_3) | instskip(SKIP_1) | instid1(VALU_DEP_3)
	v_add_co_ci_u32_e32 v12, vcc_lo, 0, v12, vcc_lo
	v_cmp_ne_u32_e32 vcc_lo, 0, v16
	v_lshl_or_b32 v14, v23, 12, v24
	v_cndmask_b32_e64 v16, 0, 1, vcc_lo
	v_cmp_gt_i32_e32 vcc_lo, 1, v23
	s_waitcnt lgkmcnt(0)
	v_lshrrev_b32_e32 v21, 16, v9
	s_delay_alu instid0(VALU_DEP_3) | instskip(SKIP_2) | instid1(VALU_DEP_4)
	v_lshl_or_b32 v16, v16, 9, 0x7c00
	v_cndmask_b32_e32 v14, v14, v13, vcc_lo
	v_cmp_gt_i32_e32 vcc_lo, 31, v22
	v_mul_f16_e64 v26, v139, v21
	v_cndmask_b32_e32 v25, 0x7c00, v12, vcc_lo
	v_lshlrev_b64 v[12:13], 2, v[18:19]
	v_and_b32_e32 v18, 7, v14
	v_cmp_eq_u32_e32 vcc_lo, 0x40f, v22
	v_lshrrev_b32_e32 v14, 2, v14
	v_fmac_f16_e64 v26, v132, v9
	v_and_or_b32 v3, 0x1ff, v4, v3
	v_cmp_eq_u32_e64 s0, 3, v18
	v_cndmask_b32_e32 v16, v25, v16, vcc_lo
	v_cmp_lt_i32_e32 vcc_lo, 5, v18
	v_mul_f64 v[18:19], v[0:1], s[8:9]
	v_cvt_f32_f16_e32 v0, v26
	v_bfe_u32 v25, v4, 20, 11
	v_and_or_b32 v11, 0x8000, v11, v16
	s_or_b32 vcc_lo, s0, vcc_lo
	s_mul_i32 s0, s5, 0xc0
	v_add_co_ci_u32_e32 v14, vcc_lo, 0, v14, vcc_lo
	v_cmp_ne_u32_e32 vcc_lo, 0, v24
	v_cvt_f64_f32_e32 v[0:1], v0
	v_lshrrev_b32_e32 v24, 8, v4
	v_sub_nc_u32_e32 v16, 0x3f1, v25
	v_and_b32_e32 v11, 0xffff, v11
	v_cndmask_b32_e64 v22, 0, 1, vcc_lo
	v_cmp_ne_u32_e32 vcc_lo, 0, v3
	s_delay_alu instid0(VALU_DEP_4) | instskip(NEXT) | instid1(VALU_DEP_3)
	v_med3_i32 v16, v16, 0, 13
	v_lshl_or_b32 v22, v22, 9, 0x7c00
	v_cndmask_b32_e64 v3, 0, 1, vcc_lo
	v_cmp_gt_i32_e32 vcc_lo, 31, v23
	s_delay_alu instid0(VALU_DEP_2) | instskip(SKIP_2) | instid1(VALU_DEP_2)
	v_and_or_b32 v3, 0xffe, v24, v3
	v_cndmask_b32_e32 v14, 0x7c00, v14, vcc_lo
	v_cmp_eq_u32_e32 vcc_lo, 0x40f, v23
	v_cndmask_b32_e32 v14, v14, v22, vcc_lo
	s_delay_alu instid0(VALU_DEP_4) | instskip(SKIP_2) | instid1(VALU_DEP_4)
	v_or_b32_e32 v22, 0x1000, v3
	v_add_co_u32 v6, vcc_lo, s2, v6
	v_add_co_ci_u32_e32 v7, vcc_lo, s3, v7, vcc_lo
	v_and_or_b32 v8, 0x8000, v8, v14
	s_delay_alu instid0(VALU_DEP_4) | instskip(NEXT) | instid1(VALU_DEP_4)
	v_lshrrev_b32_e32 v14, v16, v22
	v_add_co_u32 v6, vcc_lo, v6, v12
	s_delay_alu instid0(VALU_DEP_4) | instskip(NEXT) | instid1(VALU_DEP_3)
	v_add_co_ci_u32_e32 v7, vcc_lo, v7, v13, vcc_lo
	v_lshlrev_b32_e32 v12, v16, v14
	v_lshl_or_b32 v16, v8, 16, v11
	v_and_or_b32 v8, 0x1ff, v19, v18
	v_lshrrev_b32_e32 v18, 8, v19
	s_mul_hi_u32 s2, s4, 0xc0
	v_cmp_ne_u32_e32 vcc_lo, v12, v22
	v_mul_f16_e64 v12, v139, v9
	v_add_nc_u32_e32 v22, 0xfffffc10, v25
	s_mul_i32 s3, s4, 0xc0
	s_add_i32 s2, s2, s0
	v_cndmask_b32_e64 v11, 0, 1, vcc_lo
	v_cmp_ne_u32_e32 vcc_lo, 0, v8
	v_mul_f64 v[8:9], v[0:1], s[8:9]
	v_fma_f16 v12, v132, v21, -v12
	v_bfe_u32 v21, v19, 20, 11
	v_or_b32_e32 v14, v14, v11
	v_cndmask_b32_e64 v13, 0, 1, vcc_lo
	v_lshl_or_b32 v23, v22, 12, v3
	v_cvt_f32_f16_e32 v12, v12
	v_cmp_gt_i32_e32 vcc_lo, 1, v22
	ds_load_2addr_b32 v[0:1], v114 offset0:176 offset1:192
	v_and_or_b32 v18, 0xffe, v18, v13
	v_sub_nc_u32_e32 v13, 0x3f1, v21
	v_cvt_f64_f32_e32 v[11:12], v12
	v_cndmask_b32_e32 v23, v23, v14, vcc_lo
	v_cmp_eq_u32_e64 s1, 0x40f, v22
	v_or_b32_e32 v24, 0x1000, v18
	v_med3_i32 v25, v13, 0, 13
	v_add_co_u32 v13, vcc_lo, v6, s3
	v_and_b32_e32 v27, 7, v23
	v_add_co_ci_u32_e32 v14, vcc_lo, s2, v7, vcc_lo
	s_delay_alu instid0(VALU_DEP_4)
	v_lshrrev_b32_e32 v26, v25, v24
	s_clause 0x1
	global_store_b32 v[6:7], v20, off
	global_store_b32 v[13:14], v16, off
	v_cmp_lt_i32_e32 vcc_lo, 5, v27
	v_lshrrev_b32_e32 v20, 2, v23
	v_lshlrev_b32_e32 v25, v25, v26
	v_add_nc_u32_e32 v16, 0xfffffc10, v21
	s_waitcnt lgkmcnt(0)
	v_lshrrev_b32_e32 v28, 16, v1
	v_lshrrev_b32_e32 v19, 16, v19
	v_cmp_ne_u32_e64 s0, v25, v24
	v_lshl_or_b32 v21, v16, 12, v18
	s_delay_alu instid0(VALU_DEP_4) | instskip(NEXT) | instid1(VALU_DEP_3)
	v_mul_f16_e64 v6, v138, v28
	v_cndmask_b32_e64 v7, 0, 1, s0
	v_cmp_eq_u32_e64 s0, 3, v27
	v_and_or_b32 v8, 0x1ff, v9, v8
	s_delay_alu instid0(VALU_DEP_4)
	v_fmac_f16_e64 v6, v129, v1
	v_lshrrev_b32_e32 v25, 8, v9
	v_or_b32_e32 v7, v26, v7
	s_or_b32 vcc_lo, s0, vcc_lo
	v_bfe_u32 v26, v9, 20, 11
	v_add_co_ci_u32_e32 v23, vcc_lo, 0, v20, vcc_lo
	v_cmp_gt_i32_e32 vcc_lo, 1, v16
	v_cvt_f32_f16_e32 v6, v6
	v_mul_f16_e64 v1, v138, v1
	v_lshrrev_b32_e32 v9, 16, v9
	v_cndmask_b32_e32 v24, v21, v7, vcc_lo
	v_cmp_ne_u32_e32 vcc_lo, 0, v8
	v_mul_f64 v[20:21], v[11:12], s[8:9]
	v_sub_nc_u32_e32 v12, 0x3f1, v26
	v_cvt_f64_f32_e32 v[6:7], v6
	v_and_b32_e32 v11, 7, v24
	v_cndmask_b32_e64 v8, 0, 1, vcc_lo
	v_cmp_ne_u32_e32 vcc_lo, 0, v3
	v_med3_i32 v12, v12, 0, 13
	v_fma_f16 v1, v129, v28, -v1
	v_cmp_eq_u32_e64 s0, 3, v11
	v_and_or_b32 v8, 0xffe, v25, v8
	v_cndmask_b32_e64 v3, 0, 1, vcc_lo
	v_cmp_gt_i32_e32 vcc_lo, 31, v22
	v_cvt_f32_f16_e32 v1, v1
	s_delay_alu instid0(VALU_DEP_4) | instskip(NEXT) | instid1(VALU_DEP_4)
	v_or_b32_e32 v25, 0x1000, v8
	v_lshl_or_b32 v3, v3, 9, 0x7c00
	v_cndmask_b32_e32 v23, 0x7c00, v23, vcc_lo
	v_cmp_lt_i32_e32 vcc_lo, 5, v11
	s_delay_alu instid0(VALU_DEP_4) | instskip(NEXT) | instid1(VALU_DEP_3)
	v_lshrrev_b32_e32 v11, v12, v25
	v_cndmask_b32_e64 v22, v23, v3, s1
	v_lshrrev_b32_e32 v3, 2, v24
	s_or_b32 vcc_lo, s0, vcc_lo
	v_lshrrev_b32_e32 v23, 16, v4
	v_lshlrev_b32_e32 v4, v12, v11
	v_add_nc_u32_e32 v24, 0xfffffc10, v26
	v_add_co_ci_u32_e32 v3, vcc_lo, 0, v3, vcc_lo
	v_cmp_gt_i32_e32 vcc_lo, 31, v16
	v_and_or_b32 v22, 0x8000, v23, v22
	s_delay_alu instid0(VALU_DEP_3) | instskip(SKIP_4) | instid1(VALU_DEP_3)
	v_cndmask_b32_e32 v12, 0x7c00, v3, vcc_lo
	v_cmp_ne_u32_e32 vcc_lo, 0, v18
	v_cndmask_b32_e64 v3, 0, 1, vcc_lo
	v_cmp_ne_u32_e32 vcc_lo, v4, v25
	v_mul_f64 v[6:7], v[6:7], s[8:9]
	v_lshl_or_b32 v25, v3, 9, 0x7c00
	v_cndmask_b32_e64 v18, 0, 1, vcc_lo
	v_cmp_eq_u32_e32 vcc_lo, 0x40f, v16
	v_cvt_f64_f32_e32 v[3:4], v1
	s_delay_alu instid0(VALU_DEP_3)
	v_or_b32_e32 v1, v11, v18
	v_lshl_or_b32 v11, v24, 12, v8
	v_cndmask_b32_e32 v16, v12, v25, vcc_lo
	v_cmp_gt_i32_e32 vcc_lo, 1, v24
	v_and_or_b32 v18, 0x1ff, v21, v20
	v_bfe_u32 v20, v21, 20, 11
	s_delay_alu instid0(VALU_DEP_4) | instskip(SKIP_1) | instid1(VALU_DEP_4)
	v_and_or_b32 v16, 0x8000, v19, v16
	v_cndmask_b32_e32 v1, v11, v1, vcc_lo
	v_cmp_ne_u32_e32 vcc_lo, 0, v18
	ds_load_2addr_b32 v[11:12], v2 offset0:112 offset1:128
	v_lshrrev_b32_e32 v18, 8, v21
	v_lshrrev_b32_e32 v21, 16, v21
	v_and_b32_e32 v25, 7, v1
	v_cndmask_b32_e64 v2, 0, 1, vcc_lo
	v_lshrrev_b32_e32 v1, 2, v1
	s_delay_alu instid0(VALU_DEP_3) | instskip(SKIP_1) | instid1(VALU_DEP_4)
	v_cmp_lt_i32_e32 vcc_lo, 5, v25
	v_cmp_eq_u32_e64 s0, 3, v25
	v_and_or_b32 v23, 0xffe, v18, v2
	v_sub_nc_u32_e32 v2, 0x3f1, v20
	v_add_nc_u32_e32 v20, 0xfffffc10, v20
	s_delay_alu instid0(VALU_DEP_4) | instskip(NEXT) | instid1(VALU_DEP_3)
	s_or_b32 vcc_lo, s0, vcc_lo
	v_or_b32_e32 v18, 0x1000, v23
	v_add_co_ci_u32_e32 v1, vcc_lo, 0, v1, vcc_lo
	v_cmp_gt_i32_e32 vcc_lo, 31, v24
	v_med3_i32 v2, v2, 0, 13
	v_and_or_b32 v6, 0x1ff, v7, v6
	s_delay_alu instid0(VALU_DEP_4) | instskip(SKIP_2) | instid1(VALU_DEP_1)
	v_cndmask_b32_e32 v25, 0x7c00, v1, vcc_lo
	v_cmp_ne_u32_e32 vcc_lo, 0, v8
	v_cndmask_b32_e64 v8, 0, 1, vcc_lo
	v_lshl_or_b32 v8, v8, 9, 0x7c00
	v_and_b32_e32 v19, 0xffff, v22
	v_lshrrev_b32_e32 v22, v2, v18
	s_delay_alu instid0(VALU_DEP_2) | instskip(SKIP_2) | instid1(VALU_DEP_3)
	v_lshl_or_b32 v16, v16, 16, v19
	s_waitcnt lgkmcnt(0)
	v_lshrrev_b32_e32 v19, 16, v11
	v_lshlrev_b32_e32 v26, v2, v22
	v_mul_f64 v[1:2], v[3:4], s[8:9]
	s_delay_alu instid0(VALU_DEP_3) | instskip(NEXT) | instid1(VALU_DEP_3)
	v_mul_f16_e64 v27, v137, v19
	v_cmp_ne_u32_e32 vcc_lo, v26, v18
	v_bfe_u32 v26, v7, 20, 11
	s_delay_alu instid0(VALU_DEP_3)
	v_fmac_f16_e32 v27, v125, v11
	v_cndmask_b32_e64 v3, 0, 1, vcc_lo
	v_cmp_ne_u32_e32 vcc_lo, 0, v6
	v_lshrrev_b32_e32 v6, 8, v7
	v_mul_f16_e64 v11, v137, v11
	v_cvt_f32_f16_e32 v18, v27
	v_or_b32_e32 v22, v22, v3
	v_cndmask_b32_e64 v4, 0, 1, vcc_lo
	v_lshl_or_b32 v27, v20, 12, v23
	v_cmp_gt_i32_e32 vcc_lo, 1, v20
	v_fma_f16 v11, v125, v19, -v11
	s_delay_alu instid0(VALU_DEP_4)
	v_and_or_b32 v6, 0xffe, v6, v4
	v_cvt_f64_f32_e32 v[3:4], v18
	v_sub_nc_u32_e32 v18, 0x3f1, v26
	v_cndmask_b32_e32 v22, v27, v22, vcc_lo
	v_cmp_eq_u32_e32 vcc_lo, 0x40f, v24
	v_or_b32_e32 v27, 0x1000, v6
	s_delay_alu instid0(VALU_DEP_4) | instskip(NEXT) | instid1(VALU_DEP_4)
	v_med3_i32 v18, v18, 0, 13
	v_and_b32_e32 v24, 7, v22
	v_cndmask_b32_e32 v8, v25, v8, vcc_lo
	v_add_co_u32 v13, vcc_lo, v13, s3
	s_delay_alu instid0(VALU_DEP_4) | instskip(SKIP_1) | instid1(VALU_DEP_4)
	v_lshrrev_b32_e32 v25, v18, v27
	v_add_co_ci_u32_e32 v14, vcc_lo, s2, v14, vcc_lo
	v_and_or_b32 v28, 0x8000, v9, v8
	v_cmp_lt_i32_e32 vcc_lo, 5, v24
	s_delay_alu instid0(VALU_DEP_4)
	v_lshlrev_b32_e32 v8, v18, v25
	v_cmp_eq_u32_e64 s0, 3, v24
	v_lshrrev_b32_e32 v9, 2, v22
	v_and_or_b32 v1, 0x1ff, v2, v1
	v_add_nc_u32_e32 v22, 0xfffffc10, v26
	v_cmp_ne_u32_e64 s1, v8, v27
	s_or_b32 vcc_lo, s0, vcc_lo
	v_lshrrev_b32_e32 v26, 8, v2
	v_add_co_ci_u32_e32 v24, vcc_lo, 0, v9, vcc_lo
	v_cmp_ne_u32_e32 vcc_lo, 0, v1
	v_cndmask_b32_e64 v8, 0, 1, s1
	v_bfe_u32 v27, v2, 20, 11
	v_lshrrev_b32_e32 v2, 16, v2
	v_cndmask_b32_e64 v1, 0, 1, vcc_lo
	v_cmp_ne_u32_e32 vcc_lo, 0, v23
	v_or_b32_e32 v25, v25, v8
	v_cvt_f32_f16_e32 v8, v11
	v_lshl_or_b32 v11, v22, 12, v6
	v_and_or_b32 v1, 0xffe, v26, v1
	v_mul_f64 v[18:19], v[3:4], s[8:9]
	v_cndmask_b32_e64 v3, 0, 1, vcc_lo
	v_cmp_gt_i32_e32 vcc_lo, 1, v22
	v_cvt_f64_f32_e32 v[8:9], v8
	v_sub_nc_u32_e32 v4, 0x3f1, v27
	s_delay_alu instid0(VALU_DEP_4) | instskip(SKIP_2) | instid1(VALU_DEP_4)
	v_lshl_or_b32 v3, v3, 9, 0x7c00
	v_cndmask_b32_e32 v11, v11, v25, vcc_lo
	v_cmp_gt_i32_e32 vcc_lo, 31, v20
	v_med3_i32 v25, v4, 0, 13
	s_delay_alu instid0(VALU_DEP_3) | instskip(SKIP_3) | instid1(VALU_DEP_4)
	v_dual_cndmask_b32 v23, 0x7c00, v24 :: v_dual_and_b32 v26, 7, v11
	v_or_b32_e32 v24, 0x1000, v1
	v_cmp_eq_u32_e32 vcc_lo, 0x40f, v20
	v_lshrrev_b32_e32 v11, 2, v11
	v_cmp_eq_u32_e64 s0, 3, v26
	v_cndmask_b32_e32 v20, v23, v3, vcc_lo
	v_lshrrev_b32_e32 v23, v25, v24
	v_cmp_lt_i32_e32 vcc_lo, 5, v26
	ds_load_2addr_b32 v[3:4], v36 offset0:16 offset1:32
	v_and_or_b32 v26, 0x8000, v21, v20
	v_lshlrev_b32_e32 v20, v25, v23
	s_or_b32 vcc_lo, s0, vcc_lo
	v_and_b32_e32 v25, 0xffff, v28
	v_add_co_ci_u32_e32 v11, vcc_lo, 0, v11, vcc_lo
	s_delay_alu instid0(VALU_DEP_3) | instskip(SKIP_1) | instid1(VALU_DEP_4)
	v_cmp_ne_u32_e32 vcc_lo, v20, v24
	v_add_nc_u32_e32 v24, 0xfffffc10, v27
	v_lshl_or_b32 v26, v26, 16, v25
	v_cndmask_b32_e64 v20, 0, 1, vcc_lo
	v_cmp_gt_i32_e32 vcc_lo, 31, v22
	s_delay_alu instid0(VALU_DEP_4) | instskip(SKIP_1) | instid1(VALU_DEP_4)
	v_lshl_or_b32 v27, v24, 12, v1
	v_bfe_u32 v28, v19, 20, 11
	v_or_b32_e32 v23, v23, v20
	v_cndmask_b32_e32 v11, 0x7c00, v11, vcc_lo
	v_cmp_ne_u32_e32 vcc_lo, 0, v6
	v_mul_f64 v[20:21], v[8:9], s[8:9]
	v_and_or_b32 v9, 0x1ff, v19, v18
	s_waitcnt lgkmcnt(0)
	v_lshrrev_b32_e32 v8, 16, v4
	v_cndmask_b32_e64 v6, 0, 1, vcc_lo
	v_cmp_gt_i32_e32 vcc_lo, 1, v24
	s_delay_alu instid0(VALU_DEP_2)
	v_lshl_or_b32 v6, v6, 9, 0x7c00
	v_cndmask_b32_e32 v18, v27, v23, vcc_lo
	v_cmp_ne_u32_e32 vcc_lo, 0, v9
	v_lshrrev_b32_e32 v27, 8, v19
	v_mul_f16_e64 v23, v136, v8
	v_lshrrev_b32_e32 v19, 16, v19
	v_cndmask_b32_e64 v9, 0, 1, vcc_lo
	v_cmp_eq_u32_e32 vcc_lo, 0x40f, v22
	s_delay_alu instid0(VALU_DEP_4) | instskip(SKIP_1) | instid1(VALU_DEP_4)
	v_fmac_f16_e32 v23, v126, v4
	v_mul_f16_e64 v4, v136, v4
	v_and_or_b32 v27, 0xffe, v27, v9
	v_sub_nc_u32_e32 v9, 0x3f1, v28
	v_cndmask_b32_e32 v11, v11, v6, vcc_lo
	v_cvt_f32_f16_e32 v6, v23
	v_lshrrev_b32_e32 v23, 16, v7
	v_or_b32_e32 v29, 0x1000, v27
	v_med3_i32 v9, v9, 0, 13
	v_fma_f16 v4, v126, v8, -v4
	v_cvt_f64_f32_e32 v[6:7], v6
	v_and_or_b32 v11, 0x8000, v23, v11
	s_delay_alu instid0(VALU_DEP_4) | instskip(NEXT) | instid1(VALU_DEP_4)
	v_lshrrev_b32_e32 v25, v9, v29
	v_cvt_f32_f16_e32 v4, v4
	s_delay_alu instid0(VALU_DEP_3) | instskip(NEXT) | instid1(VALU_DEP_3)
	v_and_b32_e32 v11, 0xffff, v11
	v_lshlrev_b32_e32 v9, v9, v25
	v_and_b32_e32 v22, 7, v18
	v_lshrrev_b32_e32 v18, 2, v18
	v_and_or_b32 v8, 0x1ff, v21, v20
	v_add_nc_u32_e32 v20, 0xfffffc10, v28
	v_lshrrev_b32_e32 v28, 8, v21
	v_cmp_lt_i32_e32 vcc_lo, 5, v22
	v_cmp_eq_u32_e64 s0, 3, v22
	v_cvt_f64_f32_e32 v[22:23], v4
	v_bfe_u32 v4, v21, 20, 11
	s_delay_alu instid0(VALU_DEP_3) | instskip(SKIP_4) | instid1(VALU_DEP_2)
	s_or_b32 vcc_lo, s0, vcc_lo
	v_add_co_ci_u32_e32 v18, vcc_lo, 0, v18, vcc_lo
	v_cmp_ne_u32_e32 vcc_lo, 0, v1
	v_cndmask_b32_e64 v1, 0, 1, vcc_lo
	v_cmp_gt_i32_e32 vcc_lo, 31, v24
	v_lshl_or_b32 v1, v1, 9, 0x7c00
	v_cndmask_b32_e32 v18, 0x7c00, v18, vcc_lo
	v_cmp_ne_u32_e32 vcc_lo, v9, v29
	v_mul_f64 v[6:7], v[6:7], s[8:9]
	v_cndmask_b32_e64 v9, 0, 1, vcc_lo
	v_cmp_ne_u32_e32 vcc_lo, 0, v8
	s_delay_alu instid0(VALU_DEP_2) | instskip(SKIP_4) | instid1(VALU_DEP_4)
	v_or_b32_e32 v9, v25, v9
	v_cndmask_b32_e64 v8, 0, 1, vcc_lo
	v_cmp_eq_u32_e32 vcc_lo, 0x40f, v24
	v_sub_nc_u32_e32 v24, 0x3f1, v4
	v_add_nc_u32_e32 v4, 0xfffffc10, v4
	v_and_or_b32 v28, 0xffe, v28, v8
	v_cndmask_b32_e32 v1, v18, v1, vcc_lo
	v_lshl_or_b32 v18, v20, 12, v27
	v_cmp_gt_i32_e32 vcc_lo, 1, v20
	v_med3_i32 v30, v24, 0, 13
	v_or_b32_e32 v29, 0x1000, v28
	v_and_or_b32 v1, 0x8000, v2, v1
	v_cndmask_b32_e32 v18, v18, v9, vcc_lo
	v_add_co_u32 v24, vcc_lo, v13, s3
	ds_load_2addr_b32 v[8:9], v36 offset0:80 offset1:96
	v_lshrrev_b32_e32 v2, v30, v29
	v_add_co_ci_u32_e32 v25, vcc_lo, s2, v14, vcc_lo
	s_clause 0x1
	global_store_b32 v[13:14], v16, off
	global_store_b32 v[24:25], v26, off
	v_lshlrev_b32_e32 v13, v30, v2
	v_and_b32_e32 v31, 7, v18
	v_lshl_or_b32 v11, v1, 16, v11
	v_lshrrev_b32_e32 v1, 2, v18
	v_lshl_or_b32 v18, v4, 12, v28
	v_cmp_ne_u32_e64 s1, v13, v29
	v_cmp_lt_i32_e32 vcc_lo, 5, v31
	v_cmp_eq_u32_e64 s0, 3, v31
	v_and_or_b32 v6, 0x1ff, v7, v6
	v_bfe_u32 v26, v7, 20, 11
	v_cndmask_b32_e64 v13, 0, 1, s1
	s_delay_alu instid0(VALU_DEP_4)
	s_or_b32 vcc_lo, s0, vcc_lo
	s_waitcnt lgkmcnt(0)
	v_lshrrev_b32_e32 v16, 16, v8
	v_add_co_ci_u32_e32 v1, vcc_lo, 0, v1, vcc_lo
	v_or_b32_e32 v2, v2, v13
	v_mul_f64 v[13:14], v[22:23], s[8:9]
	v_cmp_ne_u32_e32 vcc_lo, 0, v27
	v_mul_f16_e64 v22, v134, v16
	v_cmp_ne_u32_e64 s0, 0, v6
	v_add_nc_u32_e32 v30, 0xfffffc10, v26
	v_cndmask_b32_e64 v23, 0, 1, vcc_lo
	v_cmp_gt_i32_e32 vcc_lo, 1, v4
	v_fmac_f16_e32 v22, v123, v8
	v_cndmask_b32_e64 v6, 0, 1, s0
	v_mul_f16_e64 v8, v134, v8
	v_cndmask_b32_e32 v18, v18, v2, vcc_lo
	v_cmp_gt_i32_e32 vcc_lo, 31, v20
	v_lshl_or_b32 v2, v23, 9, 0x7c00
	v_cvt_f32_f16_e32 v22, v22
	v_fma_f16 v8, v123, v16, -v8
	v_and_b32_e32 v23, 7, v18
	v_cndmask_b32_e32 v1, 0x7c00, v1, vcc_lo
	v_cmp_eq_u32_e32 vcc_lo, 0x40f, v20
	v_lshrrev_b32_e32 v18, 2, v18
	v_cvt_f32_f16_e32 v8, v8
	v_cmp_eq_u32_e64 s0, 3, v23
	v_cndmask_b32_e32 v20, v1, v2, vcc_lo
	v_cmp_lt_i32_e32 vcc_lo, 5, v23
	v_cvt_f64_f32_e32 v[1:2], v22
	v_lshrrev_b32_e32 v22, 8, v7
	v_lshrrev_b32_e32 v7, 16, v7
	s_or_b32 vcc_lo, s0, vcc_lo
	v_add_co_ci_u32_e32 v18, vcc_lo, 0, v18, vcc_lo
	s_delay_alu instid0(VALU_DEP_3)
	v_and_or_b32 v6, 0xffe, v22, v6
	v_sub_nc_u32_e32 v22, 0x3f1, v26
	v_cmp_ne_u32_e32 vcc_lo, 0, v28
	v_and_or_b32 v28, 0x8000, v19, v20
	v_and_or_b32 v13, 0x1ff, v14, v13
	v_or_b32_e32 v27, 0x1000, v6
	v_med3_i32 v22, v22, 0, 13
	v_cndmask_b32_e64 v23, 0, 1, vcc_lo
	v_cmp_gt_i32_e32 vcc_lo, 31, v4
	v_lshrrev_b32_e32 v19, 8, v14
	v_bfe_u32 v29, v14, 20, 11
	v_lshrrev_b32_e32 v20, v22, v27
	v_lshl_or_b32 v23, v23, 9, 0x7c00
	v_cndmask_b32_e32 v18, 0x7c00, v18, vcc_lo
	v_cmp_eq_u32_e32 vcc_lo, 0x40f, v4
	v_and_b32_e32 v26, 0xffff, v28
	v_cmp_ne_u32_e64 s1, 0, v6
	s_delay_alu instid0(VALU_DEP_4)
	v_cndmask_b32_e32 v4, v18, v23, vcc_lo
	v_lshlrev_b32_e32 v18, v22, v20
	v_cmp_ne_u32_e32 vcc_lo, 0, v13
	v_sub_nc_u32_e32 v22, 0x3f1, v29
	v_lshrrev_b32_e32 v23, 16, v21
	v_cndmask_b32_e64 v13, 0, 1, vcc_lo
	v_cmp_ne_u32_e32 vcc_lo, v18, v27
	s_delay_alu instid0(VALU_DEP_3) | instskip(NEXT) | instid1(VALU_DEP_3)
	v_and_or_b32 v4, 0x8000, v23, v4
	v_and_or_b32 v13, 0xffe, v19, v13
	v_cndmask_b32_e64 v16, 0, 1, vcc_lo
	v_mul_f64 v[18:19], v[1:2], s[8:9]
	v_lshl_or_b32 v2, v30, 12, v6
	v_cmp_gt_i32_e32 vcc_lo, 1, v30
	v_lshl_or_b32 v4, v4, 16, v26
	v_or_b32_e32 v1, v20, v16
	v_cvt_f64_f32_e32 v[20:21], v8
	v_or_b32_e32 v8, 0x1000, v13
	v_med3_i32 v16, v22, 0, 13
	v_cndmask_b32_e64 v6, 0, 1, s1
	v_cndmask_b32_e32 v27, v2, v1, vcc_lo
	v_add_co_u32 v22, vcc_lo, v24, s3
	s_delay_alu instid0(VALU_DEP_4) | instskip(SKIP_4) | instid1(VALU_DEP_3)
	v_lshrrev_b32_e32 v28, v16, v8
	ds_load_2addr_b32 v[1:2], v36 offset0:112 offset1:128
	v_add_co_ci_u32_e32 v23, vcc_lo, s2, v25, vcc_lo
	v_add_co_u32 v24, vcc_lo, v22, s3
	v_lshlrev_b32_e32 v16, v16, v28
	v_add_co_ci_u32_e32 v25, vcc_lo, s2, v23, vcc_lo
	v_and_b32_e32 v26, 7, v27
	v_lshl_or_b32 v6, v6, 9, 0x7c00
	s_delay_alu instid0(VALU_DEP_4) | instskip(SKIP_1) | instid1(VALU_DEP_4)
	v_cmp_ne_u32_e32 vcc_lo, v16, v8
	v_add_nc_u32_e32 v16, 0xfffffc10, v29
	v_cmp_eq_u32_e64 s0, 3, v26
	v_cndmask_b32_e64 v8, 0, 1, vcc_lo
	v_cmp_lt_i32_e32 vcc_lo, 5, v26
	v_lshrrev_b32_e32 v26, 2, v27
	v_lshl_or_b32 v27, v16, 12, v13
	s_delay_alu instid0(VALU_DEP_4)
	v_or_b32_e32 v8, v28, v8
	s_or_b32 vcc_lo, s0, vcc_lo
	s_waitcnt lgkmcnt(0)
	v_lshrrev_b32_e32 v28, 16, v2
	v_add_co_ci_u32_e32 v26, vcc_lo, 0, v26, vcc_lo
	v_cmp_gt_i32_e32 vcc_lo, 1, v16
	v_and_or_b32 v18, 0x1ff, v19, v18
	v_lshrrev_b32_e32 v31, 8, v19
	v_bfe_u32 v32, v19, 20, 11
	v_cndmask_b32_e32 v8, v27, v8, vcc_lo
	v_mul_f16_e64 v27, v133, v28
	v_cmp_gt_i32_e32 vcc_lo, 31, v30
	v_mul_f64 v[20:21], v[20:21], s[8:9]
	s_delay_alu instid0(VALU_DEP_3) | instskip(SKIP_3) | instid1(VALU_DEP_4)
	v_fmac_f16_e32 v27, v117, v2
	v_dual_cndmask_b32 v29, 0x7c00, v26 :: v_dual_and_b32 v26, 7, v8
	v_cmp_ne_u32_e32 vcc_lo, 0, v18
	v_lshrrev_b32_e32 v8, 2, v8
	v_cvt_f32_f16_e32 v27, v27
	v_mul_f16_e64 v2, v133, v2
	v_cmp_eq_u32_e64 s0, 3, v26
	v_cndmask_b32_e64 v18, 0, 1, vcc_lo
	v_cmp_lt_i32_e32 vcc_lo, 5, v26
	v_cvt_f64_f32_e32 v[26:27], v27
	v_fma_f16 v2, v117, v28, -v2
	v_add_nc_u32_e32 v28, 0xfffffc10, v32
	v_and_or_b32 v18, 0xffe, v31, v18
	s_or_b32 vcc_lo, s0, vcc_lo
	v_sub_nc_u32_e32 v31, 0x3f1, v32
	v_add_co_ci_u32_e32 v8, vcc_lo, 0, v8, vcc_lo
	v_cmp_ne_u32_e32 vcc_lo, 0, v13
	v_or_b32_e32 v33, 0x1000, v18
	s_delay_alu instid0(VALU_DEP_4)
	v_med3_i32 v31, v31, 0, 13
	v_cvt_f32_f16_e32 v2, v2
	v_lshl_or_b32 v32, v28, 12, v18
	v_cndmask_b32_e64 v13, 0, 1, vcc_lo
	v_cmp_gt_i32_e32 vcc_lo, 31, v16
	v_lshrrev_b32_e32 v34, v31, v33
	s_delay_alu instid0(VALU_DEP_3)
	v_lshl_or_b32 v13, v13, 9, 0x7c00
	v_cndmask_b32_e32 v8, 0x7c00, v8, vcc_lo
	v_cmp_eq_u32_e32 vcc_lo, 0x40f, v30
	v_cndmask_b32_e32 v6, v29, v6, vcc_lo
	v_cmp_eq_u32_e32 vcc_lo, 0x40f, v16
	v_lshlrev_b32_e32 v29, v31, v34
	v_lshrrev_b32_e32 v30, 8, v21
	v_bfe_u32 v31, v21, 20, 11
	v_and_or_b32 v16, 0x8000, v7, v6
	v_cndmask_b32_e32 v8, v8, v13, vcc_lo
	v_cmp_ne_u32_e32 vcc_lo, v29, v33
	v_and_or_b32 v6, 0x1ff, v21, v20
	v_lshrrev_b32_e32 v13, 16, v14
	v_and_b32_e32 v16, 0xffff, v16
	v_lshrrev_b32_e32 v21, 16, v21
	v_cndmask_b32_e64 v14, 0, 1, vcc_lo
	v_cmp_ne_u32_e32 vcc_lo, 0, v6
	v_mul_f64 v[26:27], v[26:27], s[8:9]
	v_and_or_b32 v8, 0x8000, v13, v8
	v_cvt_f64_f32_e32 v[6:7], v2
	v_or_b32_e32 v20, v34, v14
	v_cndmask_b32_e64 v29, 0, 1, vcc_lo
	ds_load_2addr_b32 v[13:14], v36 offset0:176 offset1:192
	v_cmp_gt_i32_e32 vcc_lo, 1, v28
	global_store_b32 v[22:23], v11, off
	global_store_b32 v[24:25], v4, off
	v_lshl_or_b32 v4, v8, 16, v16
	v_and_or_b32 v2, 0xffe, v30, v29
	v_sub_nc_u32_e32 v29, 0x3f1, v31
	v_cndmask_b32_e32 v20, v32, v20, vcc_lo
	v_add_co_u32 v22, vcc_lo, v24, s3
	s_delay_alu instid0(VALU_DEP_4) | instskip(NEXT) | instid1(VALU_DEP_4)
	v_or_b32_e32 v30, 0x1000, v2
	v_med3_i32 v29, v29, 0, 13
	s_delay_alu instid0(VALU_DEP_4) | instskip(SKIP_1) | instid1(VALU_DEP_3)
	v_and_b32_e32 v8, 7, v20
	v_add_co_ci_u32_e32 v23, vcc_lo, s2, v25, vcc_lo
	v_lshrrev_b32_e32 v11, v29, v30
	s_delay_alu instid0(VALU_DEP_3)
	v_cmp_lt_i32_e32 vcc_lo, 5, v8
	v_cmp_eq_u32_e64 s0, 3, v8
	v_lshrrev_b32_e32 v8, 2, v20
	global_store_b32 v[22:23], v4, off
	v_lshlrev_b32_e32 v16, v29, v11
	s_waitcnt lgkmcnt(0)
	v_lshrrev_b32_e32 v29, 16, v13
	s_or_b32 vcc_lo, s0, vcc_lo
	v_add_co_ci_u32_e32 v8, vcc_lo, 0, v8, vcc_lo
	v_cmp_ne_u32_e64 s1, v16, v30
	s_delay_alu instid0(VALU_DEP_3) | instskip(SKIP_2) | instid1(VALU_DEP_4)
	v_mul_f16_e64 v20, v130, v29
	v_add_nc_u32_e32 v30, 0xfffffc10, v31
	v_cmp_ne_u32_e32 vcc_lo, 0, v18
	v_cndmask_b32_e64 v16, 0, 1, s1
	s_delay_alu instid0(VALU_DEP_4)
	v_fmac_f16_e32 v20, v119, v13
	v_and_or_b32 v26, 0x1ff, v27, v26
	v_cndmask_b32_e64 v18, 0, 1, vcc_lo
	v_cmp_gt_i32_e32 vcc_lo, 1, v30
	v_or_b32_e32 v11, v11, v16
	v_lshl_or_b32 v16, v30, 12, v2
	v_cvt_f32_f16_e32 v20, v20
	v_mul_f64 v[24:25], v[6:7], s[8:9]
	v_lshl_or_b32 v18, v18, 9, 0x7c00
	s_delay_alu instid0(VALU_DEP_4)
	v_cndmask_b32_e32 v11, v16, v11, vcc_lo
	v_cmp_ne_u32_e32 vcc_lo, 0, v26
	v_cvt_f64_f32_e32 v[6:7], v20
	v_lshrrev_b32_e32 v20, 8, v27
	v_bfe_u32 v26, v27, 20, 11
	v_and_b32_e32 v31, 7, v11
	v_cndmask_b32_e64 v16, 0, 1, vcc_lo
	v_cmp_gt_i32_e32 vcc_lo, 31, v28
	s_delay_alu instid0(VALU_DEP_3) | instskip(NEXT) | instid1(VALU_DEP_3)
	v_cmp_eq_u32_e64 s0, 3, v31
	v_and_or_b32 v16, 0xffe, v20, v16
	v_cndmask_b32_e32 v8, 0x7c00, v8, vcc_lo
	v_cmp_eq_u32_e32 vcc_lo, 0x40f, v28
	v_sub_nc_u32_e32 v20, 0x3f1, v26
	v_add_nc_u32_e32 v26, 0xfffffc10, v26
	s_delay_alu instid0(VALU_DEP_4) | instskip(SKIP_4) | instid1(VALU_DEP_4)
	v_cndmask_b32_e32 v8, v8, v18, vcc_lo
	v_lshrrev_b32_e32 v18, 16, v19
	v_cmp_lt_i32_e32 vcc_lo, 5, v31
	v_or_b32_e32 v19, 0x1000, v16
	v_med3_i32 v20, v20, 0, 13
	v_and_or_b32 v31, 0x8000, v18, v8
	v_lshrrev_b32_e32 v8, 2, v11
	v_mul_f16_e64 v11, v130, v13
	s_or_b32 vcc_lo, s0, vcc_lo
	v_lshrrev_b32_e32 v13, v20, v19
	s_delay_alu instid0(VALU_DEP_3) | instskip(NEXT) | instid1(VALU_DEP_3)
	v_add_co_ci_u32_e32 v8, vcc_lo, 0, v8, vcc_lo
	v_fma_f16 v11, v119, v29, -v11
	v_cmp_ne_u32_e32 vcc_lo, 0, v2
	s_delay_alu instid0(VALU_DEP_4) | instskip(NEXT) | instid1(VALU_DEP_3)
	v_lshlrev_b32_e32 v18, v20, v13
	v_cvt_f32_f16_e32 v11, v11
	v_cndmask_b32_e64 v2, 0, 1, vcc_lo
	v_cmp_gt_i32_e32 vcc_lo, 31, v30
	v_mul_f64 v[28:29], v[6:7], s[8:9]
	s_delay_alu instid0(VALU_DEP_3)
	v_lshl_or_b32 v2, v2, 9, 0x7c00
	v_cndmask_b32_e32 v8, 0x7c00, v8, vcc_lo
	v_cmp_ne_u32_e32 vcc_lo, v18, v19
	v_cvt_f64_f32_e32 v[18:19], v11
	v_and_or_b32 v11, 0x1ff, v25, v24
	v_bfe_u32 v24, v25, 20, 11
	v_cndmask_b32_e64 v20, 0, 1, vcc_lo
	v_cmp_eq_u32_e32 vcc_lo, 0x40f, v30
	s_delay_alu instid0(VALU_DEP_2)
	v_or_b32_e32 v6, v13, v20
	v_cndmask_b32_e32 v2, v8, v2, vcc_lo
	ds_load_2addr_b32 v[7:8], v114 offset0:16 offset1:32
	v_cmp_ne_u32_e32 vcc_lo, 0, v11
	v_lshl_or_b32 v13, v26, 12, v16
	v_lshrrev_b32_e32 v20, 8, v25
	v_and_or_b32 v2, 0x8000, v21, v2
	v_cndmask_b32_e64 v11, 0, 1, vcc_lo
	v_cmp_gt_i32_e32 vcc_lo, 1, v26
	s_delay_alu instid0(VALU_DEP_2)
	v_and_or_b32 v11, 0xffe, v20, v11
	v_cndmask_b32_e32 v6, v13, v6, vcc_lo
	v_sub_nc_u32_e32 v13, 0x3f1, v24
	v_and_b32_e32 v20, 0xffff, v31
	v_add_nc_u32_e32 v24, 0xfffffc10, v24
	v_or_b32_e32 v30, 0x1000, v11
	v_and_b32_e32 v21, 7, v6
	v_med3_i32 v13, v13, 0, 13
	v_lshl_or_b32 v2, v2, 16, v20
	s_waitcnt lgkmcnt(0)
	v_lshrrev_b32_e32 v31, 16, v7
	v_add_co_u32 v20, s1, v22, s3
	v_lshrrev_b32_e32 v4, v13, v30
	v_cmp_lt_i32_e32 vcc_lo, 5, v21
	v_cmp_eq_u32_e64 s0, 3, v21
	v_lshrrev_b32_e32 v6, 2, v6
	v_mul_f16_e64 v22, v128, v31
	v_lshlrev_b32_e32 v13, v13, v4
	v_mul_f64 v[18:19], v[18:19], s[8:9]
	s_or_b32 vcc_lo, s0, vcc_lo
	v_add_co_ci_u32_e64 v21, s1, s2, v23, s1
	v_add_co_ci_u32_e32 v6, vcc_lo, 0, v6, vcc_lo
	v_fmac_f16_e32 v22, v112, v7
	v_and_or_b32 v23, 0x1ff, v29, v28
	v_cmp_ne_u32_e32 vcc_lo, v13, v30
	v_lshrrev_b32_e32 v30, 8, v29
	v_bfe_u32 v32, v29, 20, 11
	v_cvt_f32_f16_e32 v22, v22
	global_store_b32 v[20:21], v2, off
	v_cndmask_b32_e64 v13, 0, 1, vcc_lo
	v_cmp_ne_u32_e32 vcc_lo, 0, v23
	v_mul_f16_e64 v7, v128, v7
	v_cvt_f64_f32_e32 v[22:23], v22
	s_delay_alu instid0(VALU_DEP_4) | instskip(SKIP_4) | instid1(VALU_DEP_4)
	v_or_b32_e32 v4, v4, v13
	v_cndmask_b32_e64 v28, 0, 1, vcc_lo
	v_cmp_ne_u32_e32 vcc_lo, 0, v16
	v_lshl_or_b32 v13, v24, 12, v11
	v_fma_f16 v7, v112, v31, -v7
	v_and_or_b32 v28, 0xffe, v30, v28
	v_cndmask_b32_e64 v16, 0, 1, vcc_lo
	v_cmp_gt_i32_e32 vcc_lo, 1, v24
	v_sub_nc_u32_e32 v30, 0x3f1, v32
	s_delay_alu instid0(VALU_DEP_3) | instskip(SKIP_4) | instid1(VALU_DEP_4)
	v_lshl_or_b32 v16, v16, 9, 0x7c00
	v_cndmask_b32_e32 v4, v13, v4, vcc_lo
	v_cmp_gt_i32_e32 vcc_lo, 31, v26
	v_or_b32_e32 v13, 0x1000, v28
	v_med3_i32 v30, v30, 0, 13
	v_dual_cndmask_b32 v6, 0x7c00, v6 :: v_dual_and_b32 v33, 7, v4
	v_cmp_eq_u32_e32 vcc_lo, 0x40f, v26
	s_delay_alu instid0(VALU_DEP_3) | instskip(SKIP_1) | instid1(VALU_DEP_4)
	v_lshrrev_b32_e32 v2, v30, v13
	v_lshrrev_b32_e32 v4, 2, v4
	v_cmp_eq_u32_e64 s0, 3, v33
	v_and_or_b32 v18, 0x1ff, v19, v18
	v_cndmask_b32_e32 v16, v6, v16, vcc_lo
	v_cmp_lt_i32_e32 vcc_lo, 5, v33
	v_lshlrev_b32_e32 v6, v30, v2
	v_cvt_f32_f16_e32 v30, v7
	v_lshrrev_b32_e32 v26, 16, v27
	v_lshrrev_b32_e32 v31, 8, v19
	s_or_b32 vcc_lo, s0, vcc_lo
	v_cmp_ne_u32_e64 s1, v6, v13
	v_add_co_ci_u32_e32 v4, vcc_lo, 0, v4, vcc_lo
	v_cmp_ne_u32_e32 vcc_lo, 0, v18
	v_add_nc_u32_e32 v13, 0xfffffc10, v32
	s_delay_alu instid0(VALU_DEP_4)
	v_cndmask_b32_e64 v6, 0, 1, s1
	v_and_or_b32 v16, 0x8000, v26, v16
	v_lshrrev_b32_e32 v26, 16, v15
	v_cndmask_b32_e64 v18, 0, 1, vcc_lo
	v_cmp_ne_u32_e32 vcc_lo, 0, v11
	v_or_b32_e32 v2, v2, v6
	v_mul_f64 v[6:7], v[22:23], s[8:9]
	v_cvt_f64_f32_e32 v[22:23], v30
	v_lshl_or_b32 v27, v13, 12, v28
	v_bfe_u32 v30, v19, 20, 11
	v_cndmask_b32_e64 v11, 0, 1, vcc_lo
	v_cmp_gt_i32_e32 vcc_lo, 1, v13
	v_and_or_b32 v18, 0xffe, v31, v18
	v_and_b32_e32 v16, 0xffff, v16
	s_delay_alu instid0(VALU_DEP_4)
	v_lshl_or_b32 v11, v11, 9, 0x7c00
	v_cndmask_b32_e32 v2, v27, v2, vcc_lo
	v_sub_nc_u32_e32 v27, 0x3f1, v30
	v_cmp_gt_i32_e32 vcc_lo, 31, v24
	v_or_b32_e32 v32, 0x1000, v18
	v_add_nc_u32_e32 v30, 0xfffffc10, v30
	v_and_b32_e32 v31, 7, v2
	v_med3_i32 v27, v27, 0, 13
	v_cndmask_b32_e32 v4, 0x7c00, v4, vcc_lo
	v_cmp_eq_u32_e32 vcc_lo, 0x40f, v24
	v_lshrrev_b32_e32 v2, 2, v2
	v_cmp_eq_u32_e64 s0, 3, v31
	v_lshrrev_b32_e32 v24, v27, v32
	v_cndmask_b32_e32 v4, v4, v11, vcc_lo
	v_lshrrev_b32_e32 v11, 16, v25
	v_cmp_lt_i32_e32 vcc_lo, 5, v31
	s_delay_alu instid0(VALU_DEP_2) | instskip(SKIP_4) | instid1(VALU_DEP_3)
	v_and_or_b32 v4, 0x8000, v11, v4
	v_lshlrev_b32_e32 v11, v27, v24
	s_or_b32 vcc_lo, s0, vcc_lo
	v_mul_f16_e32 v27, v124, v26
	v_add_co_ci_u32_e32 v2, vcc_lo, 0, v2, vcc_lo
	v_cmp_ne_u32_e32 vcc_lo, v11, v32
	v_lshl_or_b32 v4, v4, 16, v16
	s_delay_alu instid0(VALU_DEP_4)
	v_fmac_f16_e32 v27, v110, v15
	v_and_or_b32 v6, 0x1ff, v7, v6
	v_mul_f64 v[22:23], v[22:23], s[8:9]
	v_cndmask_b32_e64 v11, 0, 1, vcc_lo
	v_cmp_gt_i32_e32 vcc_lo, 31, v13
	v_mul_f16_e32 v15, v124, v15
	s_delay_alu instid0(VALU_DEP_3)
	v_or_b32_e32 v11, v24, v11
	v_cndmask_b32_e32 v2, 0x7c00, v2, vcc_lo
	v_cmp_ne_u32_e32 vcc_lo, 0, v28
	v_lshl_or_b32 v24, v30, 12, v18
	v_bfe_u32 v28, v7, 20, 11
	v_fma_f16 v15, v110, v26, -v15
	v_cndmask_b32_e64 v25, 0, 1, vcc_lo
	v_cmp_gt_i32_e32 vcc_lo, 1, v30
	s_delay_alu instid0(VALU_DEP_3) | instskip(NEXT) | instid1(VALU_DEP_3)
	v_cvt_f32_f16_e32 v15, v15
	v_lshl_or_b32 v25, v25, 9, 0x7c00
	v_cndmask_b32_e32 v11, v24, v11, vcc_lo
	v_cmp_ne_u32_e32 vcc_lo, 0, v6
	v_lshrrev_b32_e32 v24, 8, v7
	v_lshrrev_b32_e32 v7, 16, v7
	s_delay_alu instid0(VALU_DEP_4)
	v_and_b32_e32 v31, 7, v11
	v_cndmask_b32_e64 v6, 0, 1, vcc_lo
	v_cmp_eq_u32_e32 vcc_lo, 0x40f, v13
	v_lshrrev_b32_e32 v11, 2, v11
	v_cvt_f32_f16_e32 v13, v27
	v_cmp_eq_u32_e64 s0, 3, v31
	v_and_or_b32 v6, 0xffe, v24, v6
	v_sub_nc_u32_e32 v24, 0x3f1, v28
	v_cndmask_b32_e32 v2, v2, v25, vcc_lo
	v_cmp_lt_i32_e32 vcc_lo, 5, v31
	v_add_nc_u32_e32 v28, 0xfffffc10, v28
	v_or_b32_e32 v27, 0x1000, v6
	v_med3_i32 v32, v24, 0, 13
	v_cvt_f64_f32_e32 v[24:25], v13
	s_or_b32 vcc_lo, s0, vcc_lo
	v_lshrrev_b32_e32 v13, 16, v29
	v_add_co_ci_u32_e32 v11, vcc_lo, 0, v11, vcc_lo
	v_lshrrev_b32_e32 v29, v32, v27
	v_cmp_gt_i32_e32 vcc_lo, 31, v30
	s_delay_alu instid0(VALU_DEP_4) | instskip(SKIP_1) | instid1(VALU_DEP_4)
	v_and_or_b32 v2, 0x8000, v13, v2
	v_lshrrev_b32_e32 v26, 8, v23
	v_lshlrev_b32_e32 v13, v32, v29
	v_cndmask_b32_e32 v11, 0x7c00, v11, vcc_lo
	v_cmp_ne_u32_e32 vcc_lo, 0, v18
	v_and_or_b32 v18, 0x1ff, v23, v22
	v_lshl_or_b32 v22, v28, 12, v6
	v_and_b32_e32 v2, 0xffff, v2
	v_cndmask_b32_e64 v16, 0, 1, vcc_lo
	v_cmp_ne_u32_e32 vcc_lo, v13, v27
	s_delay_alu instid0(VALU_DEP_2) | instskip(SKIP_2) | instid1(VALU_DEP_2)
	v_lshl_or_b32 v16, v16, 9, 0x7c00
	v_cndmask_b32_e64 v13, 0, 1, vcc_lo
	v_cmp_ne_u32_e32 vcc_lo, 0, v18
	v_or_b32_e32 v13, v29, v13
	v_cndmask_b32_e64 v18, 0, 1, vcc_lo
	v_cmp_gt_i32_e32 vcc_lo, 1, v28
	v_bfe_u32 v29, v23, 20, 11
	s_delay_alu instid0(VALU_DEP_4) | instskip(NEXT) | instid1(VALU_DEP_4)
	v_cndmask_b32_e32 v13, v22, v13, vcc_lo
	v_and_or_b32 v22, 0xffe, v26, v18
	v_cvt_f64_f32_e32 v[26:27], v15
	v_cmp_eq_u32_e32 vcc_lo, 0x40f, v30
	v_sub_nc_u32_e32 v15, 0x3f1, v29
	v_and_b32_e32 v31, 7, v13
	v_lshrrev_b32_e32 v30, 16, v19
	v_or_b32_e32 v32, 0x1000, v22
	v_cndmask_b32_e32 v11, v11, v16, vcc_lo
	v_add_co_u32 v20, vcc_lo, v20, s3
	v_add_co_ci_u32_e32 v21, vcc_lo, s2, v21, vcc_lo
	v_med3_i32 v33, v15, 0, 13
	v_mul_f64 v[18:19], v[24:25], s[8:9]
	ds_load_2addr_b32 v[15:16], v114 offset0:112 offset1:128
	v_cmp_lt_i32_e32 vcc_lo, 5, v31
	v_cmp_eq_u32_e64 s0, 3, v31
	global_store_b32 v[20:21], v4, off
	v_lshrrev_b32_e32 v4, 2, v13
	v_and_or_b32 v11, 0x8000, v30, v11
	v_lshrrev_b32_e32 v24, v33, v32
	s_or_b32 vcc_lo, s0, vcc_lo
	v_add_nc_u32_e32 v13, 0xfffffc10, v29
	v_add_co_ci_u32_e32 v4, vcc_lo, 0, v4, vcc_lo
	v_lshl_or_b32 v2, v11, 16, v2
	v_lshlrev_b32_e32 v11, v33, v24
	v_cmp_ne_u32_e32 vcc_lo, 0, v6
	v_lshl_or_b32 v30, v13, 12, v22
	v_cndmask_b32_e64 v6, 0, 1, vcc_lo
	s_delay_alu instid0(VALU_DEP_4) | instskip(SKIP_2) | instid1(VALU_DEP_3)
	v_cmp_ne_u32_e32 vcc_lo, v11, v32
	s_waitcnt lgkmcnt(0)
	v_lshrrev_b32_e32 v29, 16, v15
	v_lshl_or_b32 v6, v6, 9, 0x7c00
	v_cndmask_b32_e64 v11, 0, 1, vcc_lo
	v_cmp_gt_i32_e32 vcc_lo, 31, v28
	s_delay_alu instid0(VALU_DEP_4) | instskip(NEXT) | instid1(VALU_DEP_3)
	v_mul_f16_e32 v31, v122, v29
	v_or_b32_e32 v11, v24, v11
	v_cndmask_b32_e32 v4, 0x7c00, v4, vcc_lo
	v_mul_f64 v[24:25], v[26:27], s[8:9]
	v_cmp_gt_i32_e32 vcc_lo, 1, v13
	v_fmac_f16_e32 v31, v108, v15
	v_mul_f16_e32 v15, v122, v15
	v_cndmask_b32_e32 v11, v30, v11, vcc_lo
	v_add_co_u32 v20, vcc_lo, v20, s3
	v_add_co_ci_u32_e32 v21, vcc_lo, s2, v21, vcc_lo
	v_cmp_eq_u32_e32 vcc_lo, 0x40f, v28
	s_delay_alu instid0(VALU_DEP_4)
	v_and_b32_e32 v26, 7, v11
	v_cvt_f32_f16_e32 v27, v31
	v_lshrrev_b32_e32 v11, 2, v11
	v_bfe_u32 v28, v19, 20, 11
	v_cndmask_b32_e32 v4, v4, v6, vcc_lo
	v_and_or_b32 v6, 0x1ff, v19, v18
	v_cmp_lt_i32_e32 vcc_lo, 5, v26
	v_cmp_eq_u32_e64 s0, 3, v26
	v_cvt_f64_f32_e32 v[26:27], v27
	v_lshrrev_b32_e32 v18, 8, v19
	v_cmp_ne_u32_e64 s1, 0, v6
	v_and_or_b32 v4, 0x8000, v7, v4
	s_or_b32 vcc_lo, s0, vcc_lo
	v_fma_f16 v7, v108, v29, -v15
	v_add_co_ci_u32_e32 v11, vcc_lo, 0, v11, vcc_lo
	v_cndmask_b32_e64 v6, 0, 1, s1
	v_cmp_ne_u32_e32 vcc_lo, 0, v22
	v_and_b32_e32 v4, 0xffff, v4
	global_store_b32 v[20:21], v2, off
	s_mul_i32 s0, s5, 0xfffff980
	v_and_or_b32 v18, 0xffe, v18, v6
	v_cndmask_b32_e64 v22, 0, 1, vcc_lo
	v_sub_nc_u32_e32 v6, 0x3f1, v28
	v_cmp_gt_i32_e32 vcc_lo, 31, v13
	v_add_nc_u32_e32 v28, 0xfffffc10, v28
	v_or_b32_e32 v30, 0x1000, v18
	v_lshl_or_b32 v22, v22, 9, 0x7c00
	v_med3_i32 v6, v6, 0, 13
	v_cndmask_b32_e32 v11, 0x7c00, v11, vcc_lo
	v_cmp_eq_u32_e32 vcc_lo, 0x40f, v13
	v_lshrrev_b32_e32 v13, 16, v23
	v_lshrrev_b32_e32 v15, 8, v25
	;; [unrolled: 1-line block ×3, first 2 shown]
	v_bfe_u32 v29, v25, 20, 11
	v_cndmask_b32_e32 v11, v11, v22, vcc_lo
	v_and_or_b32 v22, 0x1ff, v25, v24
	s_sub_i32 s5, s0, s4
	v_lshlrev_b32_e32 v6, v6, v31
	v_lshrrev_b32_e32 v19, 16, v19
	v_and_or_b32 v11, 0x8000, v13, v11
	v_cmp_ne_u32_e32 vcc_lo, 0, v22
	v_cvt_f32_f16_e32 v22, v7
	s_delay_alu instid0(VALU_DEP_3) | instskip(SKIP_2) | instid1(VALU_DEP_4)
	v_lshl_or_b32 v4, v11, 16, v4
	v_cndmask_b32_e64 v13, 0, 1, vcc_lo
	v_cmp_ne_u32_e32 vcc_lo, v6, v30
	v_cvt_f64_f32_e32 v[22:23], v22
	v_mul_f64 v[6:7], v[26:27], s[8:9]
	v_lshl_or_b32 v26, v28, 12, v18
	v_and_or_b32 v13, 0xffe, v15, v13
	v_cndmask_b32_e64 v24, 0, 1, vcc_lo
	v_sub_nc_u32_e32 v15, 0x3f1, v29
	v_cmp_gt_i32_e32 vcc_lo, 1, v28
	s_delay_alu instid0(VALU_DEP_4) | instskip(NEXT) | instid1(VALU_DEP_4)
	v_or_b32_e32 v30, 0x1000, v13
	v_or_b32_e32 v24, v31, v24
	s_delay_alu instid0(VALU_DEP_4) | instskip(NEXT) | instid1(VALU_DEP_2)
	v_med3_i32 v15, v15, 0, 13
	v_cndmask_b32_e32 v24, v26, v24, vcc_lo
	s_delay_alu instid0(VALU_DEP_2) | instskip(SKIP_1) | instid1(VALU_DEP_3)
	v_lshrrev_b32_e32 v2, v15, v30
	v_mad_u64_u32 v[26:27], null, 0xfffff980, s4, v[20:21]
	v_and_b32_e32 v20, 7, v24
	s_delay_alu instid0(VALU_DEP_3)
	v_lshlrev_b32_e32 v11, v15, v2
	v_lshrrev_b32_e32 v15, 2, v24
	v_add_nc_u32_e32 v24, 0xfffffc10, v29
	v_lshrrev_b32_e32 v29, 16, v10
	v_cmp_lt_i32_e32 vcc_lo, 5, v20
	v_cmp_eq_u32_e64 s0, 3, v20
	v_cmp_ne_u32_e64 s1, v11, v30
	v_add_nc_u32_e32 v27, s5, v27
	v_mul_f16_e32 v30, v120, v29
	s_delay_alu instid0(VALU_DEP_4) | instskip(NEXT) | instid1(VALU_DEP_3)
	s_or_b32 vcc_lo, s0, vcc_lo
	v_cndmask_b32_e64 v11, 0, 1, s1
	v_add_co_ci_u32_e32 v15, vcc_lo, 0, v15, vcc_lo
	v_cmp_gt_i32_e32 vcc_lo, 31, v28
	v_fmac_f16_e32 v30, v106, v10
	s_delay_alu instid0(VALU_DEP_4)
	v_or_b32_e32 v2, v2, v11
	v_lshl_or_b32 v11, v24, 12, v13
	v_mul_f64 v[20:21], v[22:23], s[8:9]
	v_cndmask_b32_e32 v15, 0x7c00, v15, vcc_lo
	v_cmp_gt_i32_e32 vcc_lo, 1, v24
	v_and_or_b32 v6, 0x1ff, v7, v6
	v_lshrrev_b32_e32 v31, 8, v7
	v_cmp_eq_u32_e64 s1, 0x40f, v28
	v_mul_f16_e32 v10, v120, v10
	v_cndmask_b32_e32 v2, v11, v2, vcc_lo
	v_cmp_ne_u32_e32 vcc_lo, 0, v18
	v_cvt_f32_f16_e32 v18, v30
	global_store_b32 v[26:27], v4, off
	v_fma_f16 v10, v106, v29, -v10
	v_and_b32_e32 v30, 7, v2
	v_cndmask_b32_e64 v11, 0, 1, vcc_lo
	v_cvt_f64_f32_e32 v[22:23], v18
	v_cmp_ne_u32_e32 vcc_lo, 0, v6
	v_bfe_u32 v18, v7, 20, 11
	v_cmp_eq_u32_e64 s0, 3, v30
	v_lshrrev_b32_e32 v2, 2, v2
	v_lshl_or_b32 v11, v11, 9, 0x7c00
	v_cndmask_b32_e64 v6, 0, 1, vcc_lo
	v_cmp_lt_i32_e32 vcc_lo, 5, v30
	v_sub_nc_u32_e32 v30, 0x3f1, v18
	v_cvt_f32_f16_e32 v10, v10
	v_cndmask_b32_e64 v11, v15, v11, s1
	v_and_or_b32 v6, 0xffe, v31, v6
	s_or_b32 vcc_lo, s0, vcc_lo
	v_med3_i32 v28, v30, 0, 13
	v_add_co_ci_u32_e32 v2, vcc_lo, 0, v2, vcc_lo
	s_delay_alu instid0(VALU_DEP_3) | instskip(SKIP_2) | instid1(VALU_DEP_3)
	v_or_b32_e32 v15, 0x1000, v6
	v_cmp_ne_u32_e32 vcc_lo, 0, v13
	v_and_or_b32 v31, 0x8000, v19, v11
	v_lshrrev_b32_e32 v30, v28, v15
	v_cndmask_b32_e64 v13, 0, 1, vcc_lo
	v_cmp_gt_i32_e32 vcc_lo, 31, v24
	v_bfe_u32 v29, v21, 20, 11
	s_delay_alu instid0(VALU_DEP_4) | instskip(NEXT) | instid1(VALU_DEP_4)
	v_lshlrev_b32_e32 v28, v28, v30
	v_lshl_or_b32 v13, v13, 9, 0x7c00
	v_cndmask_b32_e32 v2, 0x7c00, v2, vcc_lo
	v_cmp_eq_u32_e32 vcc_lo, 0x40f, v24
	s_delay_alu instid0(VALU_DEP_2)
	v_cndmask_b32_e32 v2, v2, v13, vcc_lo
	v_cmp_ne_u32_e32 vcc_lo, v28, v15
	v_and_or_b32 v15, 0x1ff, v21, v20
	v_add_nc_u32_e32 v13, 0xfffffc10, v18
	v_mul_f64 v[18:19], v[22:23], s[8:9]
	v_lshrrev_b32_e32 v20, 16, v25
	v_cndmask_b32_e64 v11, 0, 1, vcc_lo
	v_cmp_ne_u32_e32 vcc_lo, 0, v15
	v_lshl_or_b32 v25, v13, 12, v6
	v_lshrrev_b32_e32 v28, 8, v21
	v_cvt_f64_f32_e32 v[22:23], v10
	v_or_b32_e32 v24, v30, v11
	v_cndmask_b32_e64 v15, 0, 1, vcc_lo
	v_cmp_gt_i32_e32 vcc_lo, 1, v13
	ds_load_2addr_b32 v[10:11], v114 offset0:208 offset1:224
	v_and_or_b32 v2, 0x8000, v20, v2
	v_and_b32_e32 v20, 0xffff, v31
	v_and_or_b32 v15, 0xffe, v28, v15
	v_cndmask_b32_e32 v30, v25, v24, vcc_lo
	v_sub_nc_u32_e32 v24, 0x3f1, v29
	s_delay_alu instid0(VALU_DEP_4) | instskip(NEXT) | instid1(VALU_DEP_4)
	v_lshl_or_b32 v2, v2, 16, v20
	v_or_b32_e32 v28, 0x1000, v15
	s_delay_alu instid0(VALU_DEP_4) | instskip(NEXT) | instid1(VALU_DEP_4)
	v_and_b32_e32 v25, 7, v30
	v_med3_i32 v31, v24, 0, 13
	v_lshrrev_b32_e32 v20, 2, v30
	v_add_co_u32 v24, s1, v26, s3
	s_delay_alu instid0(VALU_DEP_4) | instskip(NEXT) | instid1(VALU_DEP_4)
	v_cmp_lt_i32_e32 vcc_lo, 5, v25
	v_lshrrev_b32_e32 v4, v31, v28
	v_cmp_eq_u32_e64 s0, 3, v25
	v_add_co_ci_u32_e64 v25, s1, s2, v27, s1
	s_delay_alu instid0(VALU_DEP_3) | instskip(NEXT) | instid1(VALU_DEP_3)
	v_lshlrev_b32_e32 v26, v31, v4
	s_or_b32 vcc_lo, s0, vcc_lo
	s_waitcnt lgkmcnt(0)
	v_lshrrev_b32_e32 v30, 16, v10
	v_add_co_ci_u32_e32 v20, vcc_lo, 0, v20, vcc_lo
	v_cmp_ne_u32_e32 vcc_lo, v26, v28
	v_add_nc_u32_e32 v28, 0xfffffc10, v29
	s_delay_alu instid0(VALU_DEP_4)
	v_mul_f16_e32 v27, v118, v30
	v_and_or_b32 v18, 0x1ff, v19, v18
	v_lshrrev_b32_e32 v29, 8, v19
	v_cndmask_b32_e64 v26, 0, 1, vcc_lo
	v_cmp_ne_u32_e32 vcc_lo, 0, v6
	v_fmac_f16_e32 v27, v104, v10
	v_bfe_u32 v31, v19, 20, 11
	v_mul_f64 v[22:23], v[22:23], s[8:9]
	v_or_b32_e32 v4, v4, v26
	v_cndmask_b32_e64 v6, 0, 1, vcc_lo
	v_lshl_or_b32 v26, v28, 12, v15
	v_cmp_gt_i32_e32 vcc_lo, 1, v28
	v_cvt_f32_f16_e32 v27, v27
	v_mul_f16_e32 v10, v118, v10
	v_lshl_or_b32 v6, v6, 9, 0x7c00
	v_cndmask_b32_e32 v4, v26, v4, vcc_lo
	v_cmp_ne_u32_e32 vcc_lo, 0, v18
	v_cvt_f64_f32_e32 v[26:27], v27
	v_fma_f16 v10, v104, v30, -v10
	s_delay_alu instid0(VALU_DEP_4) | instskip(SKIP_3) | instid1(VALU_DEP_4)
	v_and_b32_e32 v32, 7, v4
	v_cndmask_b32_e64 v18, 0, 1, vcc_lo
	v_cmp_gt_i32_e32 vcc_lo, 31, v13
	v_lshrrev_b32_e32 v4, 2, v4
	v_cmp_eq_u32_e64 s0, 3, v32
	s_delay_alu instid0(VALU_DEP_4) | instskip(SKIP_4) | instid1(VALU_DEP_4)
	v_and_or_b32 v18, 0xffe, v29, v18
	v_cndmask_b32_e32 v20, 0x7c00, v20, vcc_lo
	v_cmp_eq_u32_e32 vcc_lo, 0x40f, v13
	v_sub_nc_u32_e32 v29, 0x3f1, v31
	v_add_nc_u32_e32 v31, 0xfffffc10, v31
	v_cndmask_b32_e32 v13, v20, v6, vcc_lo
	v_cmp_lt_i32_e32 vcc_lo, 5, v32
	v_or_b32_e32 v20, 0x1000, v18
	v_med3_i32 v6, v29, 0, 13
	v_lshrrev_b32_e32 v29, 16, v7
	v_cvt_f32_f16_e32 v7, v10
	s_or_b32 vcc_lo, s0, vcc_lo
	v_add_co_ci_u32_e32 v4, vcc_lo, 0, v4, vcc_lo
	v_lshrrev_b32_e32 v30, v6, v20
	v_cmp_ne_u32_e32 vcc_lo, 0, v15
	v_and_or_b32 v13, 0x8000, v29, v13
	s_delay_alu instid0(VALU_DEP_3) | instskip(SKIP_4) | instid1(VALU_DEP_4)
	v_lshlrev_b32_e32 v15, v6, v30
	v_cndmask_b32_e64 v10, 0, 1, vcc_lo
	v_cmp_gt_i32_e32 vcc_lo, 31, v28
	v_cvt_f64_f32_e32 v[6:7], v7
	v_and_b32_e32 v13, 0xffff, v13
	v_lshl_or_b32 v10, v10, 9, 0x7c00
	v_cndmask_b32_e32 v4, 0x7c00, v4, vcc_lo
	v_cmp_ne_u32_e32 vcc_lo, v15, v20
	v_and_or_b32 v20, 0x1ff, v23, v22
	v_mul_f64 v[26:27], v[26:27], s[8:9]
	v_lshrrev_b32_e32 v22, 8, v23
	v_cndmask_b32_e64 v15, 0, 1, vcc_lo
	v_cmp_eq_u32_e32 vcc_lo, 0x40f, v28
	v_bfe_u32 v28, v23, 20, 11
	v_cndmask_b32_e32 v4, v4, v10, vcc_lo
	v_cmp_ne_u32_e32 vcc_lo, 0, v20
	v_or_b32_e32 v10, v30, v15
	v_lshl_or_b32 v15, v31, 12, v18
	v_lshrrev_b32_e32 v30, 16, v12
	v_add_nc_u32_e32 v33, 0xfffffc10, v28
	v_cndmask_b32_e64 v20, 0, 1, vcc_lo
	v_cmp_gt_i32_e32 vcc_lo, 1, v31
	s_delay_alu instid0(VALU_DEP_4) | instskip(NEXT) | instid1(VALU_DEP_3)
	v_mul_f16_e32 v32, v116, v30
	v_and_or_b32 v22, 0xffe, v22, v20
	v_cndmask_b32_e32 v10, v15, v10, vcc_lo
	v_lshrrev_b32_e32 v15, 16, v21
	v_sub_nc_u32_e32 v20, 0x3f1, v28
	v_fmac_f16_e32 v32, v102, v12
	s_delay_alu instid0(VALU_DEP_4) | instskip(NEXT) | instid1(VALU_DEP_4)
	v_and_b32_e32 v21, 7, v10
	v_and_or_b32 v4, 0x8000, v15, v4
	v_or_b32_e32 v15, 0x1000, v22
	v_med3_i32 v20, v20, 0, 13
	v_lshrrev_b32_e32 v10, 2, v10
	v_cmp_lt_i32_e32 vcc_lo, 5, v21
	v_cmp_eq_u32_e64 s0, 3, v21
	v_lshl_or_b32 v4, v4, 16, v13
	v_lshrrev_b32_e32 v13, v20, v15
	v_mul_f64 v[6:7], v[6:7], s[8:9]
	v_cvt_f32_f16_e32 v28, v32
	s_or_b32 vcc_lo, s0, vcc_lo
	v_and_or_b32 v26, 0x1ff, v27, v26
	v_add_co_ci_u32_e32 v10, vcc_lo, 0, v10, vcc_lo
	v_lshlrev_b32_e32 v29, v20, v13
	v_add_co_u32 v20, vcc_lo, v24, s3
	v_add_co_ci_u32_e32 v21, vcc_lo, s2, v25, vcc_lo
	v_cmp_gt_i32_e32 vcc_lo, 31, v31
	v_lshrrev_b32_e32 v32, 8, v27
	v_bfe_u32 v34, v27, 20, 11
	global_store_b32 v[24:25], v2, off
	global_store_b32 v[20:21], v4, off
	v_lshrrev_b32_e32 v27, 16, v27
	v_cndmask_b32_e32 v10, 0x7c00, v10, vcc_lo
	v_cmp_ne_u32_e32 vcc_lo, v29, v15
	v_cvt_f64_f32_e32 v[28:29], v28
	v_cndmask_b32_e64 v15, 0, 1, vcc_lo
	v_cmp_ne_u32_e32 vcc_lo, 0, v18
	s_delay_alu instid0(VALU_DEP_2) | instskip(SKIP_3) | instid1(VALU_DEP_3)
	v_or_b32_e32 v13, v13, v15
	v_cndmask_b32_e64 v18, 0, 1, vcc_lo
	v_cmp_ne_u32_e32 vcc_lo, 0, v26
	v_lshl_or_b32 v15, v33, 12, v22
	v_lshl_or_b32 v18, v18, 9, 0x7c00
	v_cndmask_b32_e64 v26, 0, 1, vcc_lo
	v_cmp_gt_i32_e32 vcc_lo, 1, v33
	v_and_or_b32 v6, 0x1ff, v7, v6
	v_cndmask_b32_e32 v13, v15, v13, vcc_lo
	s_delay_alu instid0(VALU_DEP_4) | instskip(SKIP_3) | instid1(VALU_DEP_4)
	v_and_or_b32 v15, 0xffe, v32, v26
	v_sub_nc_u32_e32 v26, 0x3f1, v34
	v_cmp_eq_u32_e32 vcc_lo, 0x40f, v31
	v_cmp_ne_u32_e64 s1, 0, v6
	v_or_b32_e32 v31, 0x1000, v15
	s_delay_alu instid0(VALU_DEP_4)
	v_med3_i32 v26, v26, 0, 13
	v_cndmask_b32_e32 v10, v10, v18, vcc_lo
	v_lshrrev_b32_e32 v18, 16, v19
	v_and_b32_e32 v19, 7, v13
	v_cndmask_b32_e64 v6, 0, 1, s1
	v_lshrrev_b32_e32 v4, v26, v31
	s_delay_alu instid0(VALU_DEP_4) | instskip(SKIP_2) | instid1(VALU_DEP_4)
	v_and_or_b32 v2, 0x8000, v18, v10
	v_mul_f16_e32 v10, v116, v12
	v_lshrrev_b32_e32 v12, 2, v13
	v_lshlrev_b32_e32 v13, v26, v4
	v_lshrrev_b32_e32 v18, 8, v7
	v_bfe_u32 v26, v7, 20, 11
	v_fma_f16 v10, v102, v30, -v10
	v_cmp_lt_i32_e32 vcc_lo, 5, v19
	v_cmp_ne_u32_e64 s1, v13, v31
	v_cmp_eq_u32_e64 s0, 3, v19
	v_and_or_b32 v6, 0xffe, v18, v6
	v_cvt_f32_f16_e32 v10, v10
	v_sub_nc_u32_e32 v31, 0x3f1, v26
	v_cndmask_b32_e64 v13, 0, 1, s1
	s_or_b32 vcc_lo, s0, vcc_lo
	v_add_nc_u32_e32 v30, 0xfffffc10, v34
	v_cvt_f64_f32_e32 v[24:25], v10
	v_add_co_ci_u32_e32 v10, vcc_lo, 0, v12, vcc_lo
	v_mul_f64 v[18:19], v[28:29], s[8:9]
	v_or_b32_e32 v4, v4, v13
	v_or_b32_e32 v28, 0x1000, v6
	v_med3_i32 v13, v31, 0, 13
	v_cmp_ne_u32_e32 vcc_lo, 0, v22
	v_lshl_or_b32 v12, v30, 12, v15
	v_add_nc_u32_e32 v26, 0xfffffc10, v26
	v_and_b32_e32 v2, 0xffff, v2
	v_lshrrev_b32_e32 v29, v13, v28
	v_cndmask_b32_e64 v22, 0, 1, vcc_lo
	v_cmp_gt_i32_e32 vcc_lo, 1, v30
	s_delay_alu instid0(VALU_DEP_3) | instskip(NEXT) | instid1(VALU_DEP_3)
	v_lshlrev_b32_e32 v32, v13, v29
	v_lshl_or_b32 v22, v22, 9, 0x7c00
	v_cndmask_b32_e32 v4, v12, v4, vcc_lo
	v_cmp_gt_i32_e32 vcc_lo, 31, v33
	ds_load_2addr_b32 v[12:13], v36 offset0:48 offset1:64
	v_cmp_ne_u32_e64 s0, v32, v28
	v_dual_cndmask_b32 v10, 0x7c00, v10 :: v_dual_and_b32 v31, 7, v4
	v_cmp_eq_u32_e32 vcc_lo, 0x40f, v33
	v_lshrrev_b32_e32 v4, 2, v4
	s_delay_alu instid0(VALU_DEP_3) | instskip(SKIP_4) | instid1(VALU_DEP_4)
	v_cndmask_b32_e32 v10, v10, v22, vcc_lo
	v_lshrrev_b32_e32 v22, 16, v23
	v_cmp_lt_i32_e32 vcc_lo, 5, v31
	v_cndmask_b32_e64 v23, 0, 1, s0
	v_cmp_eq_u32_e64 s0, 3, v31
	v_and_or_b32 v10, 0x8000, v22, v10
	s_delay_alu instid0(VALU_DEP_3) | instskip(NEXT) | instid1(VALU_DEP_3)
	v_or_b32_e32 v22, v29, v23
	s_or_b32 vcc_lo, s0, vcc_lo
	v_lshl_or_b32 v23, v26, 12, v6
	v_add_co_ci_u32_e32 v4, vcc_lo, 0, v4, vcc_lo
	v_cmp_ne_u32_e32 vcc_lo, 0, v15
	v_and_or_b32 v18, 0x1ff, v19, v18
	s_waitcnt lgkmcnt(0)
	v_lshrrev_b32_e32 v29, 16, v12
	v_lshrrev_b32_e32 v31, 8, v19
	v_bfe_u32 v32, v19, 20, 11
	v_cndmask_b32_e64 v15, 0, 1, vcc_lo
	v_cmp_gt_i32_e32 vcc_lo, 1, v26
	v_lshl_or_b32 v2, v10, 16, v2
	s_delay_alu instid0(VALU_DEP_3) | instskip(SKIP_4) | instid1(VALU_DEP_4)
	v_lshl_or_b32 v15, v15, 9, 0x7c00
	v_cndmask_b32_e32 v28, v23, v22, vcc_lo
	v_mul_f64 v[22:23], v[24:25], s[8:9]
	v_cmp_gt_i32_e32 vcc_lo, 31, v30
	v_mul_f16_e32 v24, v115, v29
	v_and_b32_e32 v25, 7, v28
	v_lshrrev_b32_e32 v28, 2, v28
	v_cndmask_b32_e32 v4, 0x7c00, v4, vcc_lo
	v_cmp_ne_u32_e32 vcc_lo, 0, v18
	v_fmac_f16_e32 v24, v99, v12
	v_cmp_eq_u32_e64 s0, 3, v25
	v_cndmask_b32_e64 v18, 0, 1, vcc_lo
	v_cmp_eq_u32_e32 vcc_lo, 0x40f, v30
	v_sub_nc_u32_e32 v30, 0x3f1, v32
	s_delay_alu instid0(VALU_DEP_3) | instskip(SKIP_4) | instid1(VALU_DEP_4)
	v_and_or_b32 v18, 0xffe, v31, v18
	v_cndmask_b32_e32 v4, v4, v15, vcc_lo
	v_cmp_lt_i32_e32 vcc_lo, 5, v25
	v_cvt_f32_f16_e32 v15, v24
	v_med3_i32 v30, v30, 0, 13
	v_and_or_b32 v4, 0x8000, v27, v4
	s_or_b32 vcc_lo, s0, vcc_lo
	s_delay_alu instid0(VALU_DEP_3) | instskip(SKIP_4) | instid1(VALU_DEP_3)
	v_cvt_f64_f32_e32 v[24:25], v15
	v_add_co_ci_u32_e32 v28, vcc_lo, 0, v28, vcc_lo
	v_or_b32_e32 v15, 0x1000, v18
	v_cmp_ne_u32_e32 vcc_lo, 0, v6
	v_and_b32_e32 v4, 0xffff, v4
	v_lshrrev_b32_e32 v31, v30, v15
	v_cndmask_b32_e64 v6, 0, 1, vcc_lo
	v_cmp_gt_i32_e32 vcc_lo, 31, v26
	s_delay_alu instid0(VALU_DEP_3) | instskip(NEXT) | instid1(VALU_DEP_3)
	v_lshlrev_b32_e32 v27, v30, v31
	v_lshl_or_b32 v6, v6, 9, 0x7c00
	v_cndmask_b32_e32 v28, 0x7c00, v28, vcc_lo
	v_cmp_eq_u32_e32 vcc_lo, 0x40f, v26
	s_delay_alu instid0(VALU_DEP_2)
	v_cndmask_b32_e32 v26, v28, v6, vcc_lo
	v_lshrrev_b32_e32 v28, 16, v7
	v_and_or_b32 v7, 0x1ff, v23, v22
	v_cmp_ne_u32_e32 vcc_lo, v27, v15
	v_mul_f16_e32 v6, v115, v12
	v_add_nc_u32_e32 v15, 0xfffffc10, v32
	v_lshrrev_b32_e32 v22, 8, v23
	v_bfe_u32 v27, v23, 20, 11
	v_cndmask_b32_e64 v12, 0, 1, vcc_lo
	v_cmp_ne_u32_e32 vcc_lo, 0, v7
	v_fma_f16 v6, v99, v29, -v6
	v_lshl_or_b32 v29, v15, 12, v18
	v_sub_nc_u32_e32 v30, 0x3f1, v27
	v_or_b32_e32 v12, v31, v12
	v_cndmask_b32_e64 v7, 0, 1, vcc_lo
	v_cvt_f32_f16_e32 v6, v6
	v_cmp_gt_i32_e32 vcc_lo, 1, v15
	v_med3_i32 v30, v30, 0, 13
	v_mul_f64 v[24:25], v[24:25], s[8:9]
	v_and_or_b32 v22, 0xffe, v22, v7
	v_cvt_f64_f32_e32 v[6:7], v6
	v_cndmask_b32_e32 v12, v29, v12, vcc_lo
	v_and_or_b32 v10, 0x8000, v28, v26
	v_add_co_u32 v20, vcc_lo, v20, s3
	v_or_b32_e32 v29, 0x1000, v22
	s_delay_alu instid0(VALU_DEP_4) | instskip(SKIP_2) | instid1(VALU_DEP_4)
	v_and_b32_e32 v26, 7, v12
	v_add_co_ci_u32_e32 v21, vcc_lo, s2, v21, vcc_lo
	v_lshl_or_b32 v4, v10, 16, v4
	v_lshrrev_b32_e32 v28, v30, v29
	s_delay_alu instid0(VALU_DEP_4)
	v_cmp_lt_i32_e32 vcc_lo, 5, v26
	v_cmp_eq_u32_e64 s0, 3, v26
	v_lshrrev_b32_e32 v10, 2, v12
	v_lshrrev_b32_e32 v31, 16, v9
	v_lshlrev_b32_e32 v30, v30, v28
	v_lshrrev_b32_e32 v23, 16, v23
	s_or_b32 vcc_lo, s0, vcc_lo
	v_add_co_ci_u32_e32 v10, vcc_lo, 0, v10, vcc_lo
	s_delay_alu instid0(VALU_DEP_3) | instskip(SKIP_2) | instid1(VALU_DEP_3)
	v_cmp_ne_u32_e64 s1, v30, v29
	v_add_nc_u32_e32 v30, 0xfffffc10, v27
	v_cmp_ne_u32_e32 vcc_lo, 0, v18
	v_cndmask_b32_e64 v12, 0, 1, s1
	s_delay_alu instid0(VALU_DEP_3) | instskip(SKIP_2) | instid1(VALU_DEP_4)
	v_lshl_or_b32 v26, v30, 12, v22
	v_cndmask_b32_e64 v18, 0, 1, vcc_lo
	v_cmp_gt_i32_e32 vcc_lo, 1, v30
	v_or_b32_e32 v12, v28, v12
	v_mul_f16_e32 v28, v113, v31
	s_delay_alu instid0(VALU_DEP_4) | instskip(NEXT) | instid1(VALU_DEP_3)
	v_lshl_or_b32 v18, v18, 9, 0x7c00
	v_cndmask_b32_e32 v12, v26, v12, vcc_lo
	v_cmp_gt_i32_e32 vcc_lo, 31, v15
	s_delay_alu instid0(VALU_DEP_4)
	v_fmac_f16_e32 v28, v101, v9
	v_mul_f64 v[26:27], v[6:7], s[8:9]
	v_and_or_b32 v7, 0x1ff, v25, v24
	v_dual_cndmask_b32 v10, 0x7c00, v10 :: v_dual_and_b32 v29, 7, v12
	v_cmp_eq_u32_e32 vcc_lo, 0x40f, v15
	v_lshrrev_b32_e32 v12, 2, v12
	s_delay_alu instid0(VALU_DEP_4) | instskip(NEXT) | instid1(VALU_DEP_4)
	v_cmp_ne_u32_e64 s1, 0, v7
	v_cmp_eq_u32_e64 s0, 3, v29
	v_lshrrev_b32_e32 v15, 8, v25
	v_cndmask_b32_e32 v6, v10, v18, vcc_lo
	v_cvt_f32_f16_e32 v10, v28
	v_cmp_lt_i32_e32 vcc_lo, 5, v29
	v_cndmask_b32_e64 v7, 0, 1, s1
	v_lshrrev_b32_e32 v24, 16, v19
	s_delay_alu instid0(VALU_DEP_4)
	v_cvt_f64_f32_e32 v[28:29], v10
	v_bfe_u32 v10, v25, 20, 11
	s_or_b32 vcc_lo, s0, vcc_lo
	v_and_or_b32 v15, 0xffe, v15, v7
	v_add_co_ci_u32_e32 v12, vcc_lo, 0, v12, vcc_lo
	v_cmp_ne_u32_e32 vcc_lo, 0, v22
	v_sub_nc_u32_e32 v7, 0x3f1, v10
	s_delay_alu instid0(VALU_DEP_4)
	v_or_b32_e32 v22, 0x1000, v15
	v_and_or_b32 v24, 0x8000, v24, v6
	v_mul_f16_e32 v6, v113, v9
	v_cndmask_b32_e64 v18, 0, 1, vcc_lo
	v_cmp_gt_i32_e32 vcc_lo, 31, v30
	v_med3_i32 v7, v7, 0, 13
	v_and_b32_e32 v24, 0xffff, v24
	v_lshrrev_b32_e32 v25, 16, v25
	v_lshl_or_b32 v18, v18, 9, 0x7c00
	v_cndmask_b32_e32 v12, 0x7c00, v12, vcc_lo
	v_cmp_eq_u32_e32 vcc_lo, 0x40f, v30
	v_lshrrev_b32_e32 v30, v7, v22
	s_delay_alu instid0(VALU_DEP_3) | instskip(NEXT) | instid1(VALU_DEP_2)
	v_cndmask_b32_e32 v12, v12, v18, vcc_lo
	v_lshlrev_b32_e32 v7, v7, v30
	v_add_co_u32 v18, vcc_lo, v20, s3
	v_add_co_ci_u32_e32 v19, vcc_lo, s2, v21, vcc_lo
	v_and_or_b32 v9, 0x1ff, v27, v26
	s_delay_alu instid0(VALU_DEP_4)
	v_cmp_ne_u32_e32 vcc_lo, v7, v22
	v_add_nc_u32_e32 v26, 0xfffffc10, v10
	v_fma_f16 v10, v101, v31, -v6
	v_and_or_b32 v12, 0x8000, v23, v12
	ds_load_2addr_b32 v[6:7], v36 offset0:144 offset1:160
	v_cndmask_b32_e64 v22, 0, 1, vcc_lo
	v_cmp_ne_u32_e32 vcc_lo, 0, v9
	v_cvt_f32_f16_e32 v33, v10
	v_mul_f64 v[9:10], v[28:29], s[8:9]
	v_lshrrev_b32_e32 v31, 8, v27
	v_bfe_u32 v32, v27, 20, 11
	v_cndmask_b32_e64 v23, 0, 1, vcc_lo
	v_or_b32_e32 v28, v30, v22
	v_lshl_or_b32 v29, v26, 12, v15
	v_cmp_gt_i32_e32 vcc_lo, 1, v26
	global_store_b32 v[20:21], v2, off
	global_store_b32 v[18:19], v4, off
	v_and_or_b32 v30, 0xffe, v31, v23
	v_cvt_f64_f32_e32 v[22:23], v33
	v_sub_nc_u32_e32 v31, 0x3f1, v32
	v_cndmask_b32_e32 v28, v29, v28, vcc_lo
	v_lshl_or_b32 v2, v12, 16, v24
	v_or_b32_e32 v29, 0x1000, v30
	v_add_co_u32 v18, vcc_lo, v18, s3
	v_med3_i32 v31, v31, 0, 13
	v_and_b32_e32 v4, 7, v28
	s_waitcnt lgkmcnt(0)
	v_lshrrev_b32_e32 v24, 16, v6
	v_add_co_ci_u32_e32 v19, vcc_lo, s2, v19, vcc_lo
	v_lshrrev_b32_e32 v12, v31, v29
	v_cmp_lt_i32_e32 vcc_lo, 5, v4
	v_cmp_eq_u32_e64 s0, 3, v4
	v_lshrrev_b32_e32 v21, 2, v28
	v_mul_f16_e32 v4, v111, v24
	v_lshlrev_b32_e32 v20, v31, v12
	v_add_nc_u32_e32 v28, 0xfffffc10, v32
	s_or_b32 vcc_lo, s0, vcc_lo
	v_lshrrev_b32_e32 v27, 16, v27
	v_fmac_f16_e32 v4, v96, v6
	v_cmp_ne_u32_e64 s1, v20, v29
	v_add_co_ci_u32_e32 v29, vcc_lo, 0, v21, vcc_lo
	v_cmp_ne_u32_e32 vcc_lo, 0, v15
	s_delay_alu instid0(VALU_DEP_4) | instskip(NEXT) | instid1(VALU_DEP_4)
	v_cvt_f32_f16_e32 v4, v4
	v_cndmask_b32_e64 v20, 0, 1, s1
	v_mul_f16_e32 v6, v111, v6
	v_and_or_b32 v9, 0x1ff, v10, v9
	v_cndmask_b32_e64 v15, 0, 1, vcc_lo
	v_cmp_gt_i32_e32 vcc_lo, 1, v28
	v_or_b32_e32 v12, v12, v20
	v_lshl_or_b32 v20, v28, 12, v30
	v_bfe_u32 v31, v10, 20, 11
	v_lshl_or_b32 v15, v15, 9, 0x7c00
	v_fma_f16 v6, v96, v24, -v6
	global_store_b32 v[18:19], v2, off
	v_cndmask_b32_e32 v12, v20, v12, vcc_lo
	v_cvt_f64_f32_e32 v[20:21], v4
	v_cmp_ne_u32_e32 vcc_lo, 0, v9
	v_mul_f64 v[22:23], v[22:23], s[8:9]
	v_lshrrev_b32_e32 v9, 8, v10
	v_and_b32_e32 v32, 7, v12
	v_lshrrev_b32_e32 v12, 2, v12
	v_cndmask_b32_e64 v4, 0, 1, vcc_lo
	v_cmp_gt_i32_e32 vcc_lo, 31, v26
	v_cvt_f32_f16_e32 v6, v6
	v_cmp_eq_u32_e64 s0, 3, v32
	v_add_co_u32 v18, s1, v18, s3
	v_cndmask_b32_e32 v29, 0x7c00, v29, vcc_lo
	v_cmp_eq_u32_e32 vcc_lo, 0x40f, v26
	v_and_or_b32 v4, 0xffe, v9, v4
	v_sub_nc_u32_e32 v9, 0x3f1, v31
	v_add_co_ci_u32_e64 v19, s1, s2, v19, s1
	v_cndmask_b32_e32 v15, v29, v15, vcc_lo
	v_cmp_lt_i32_e32 vcc_lo, 5, v32
	v_or_b32_e32 v26, 0x1000, v4
	v_med3_i32 v9, v9, 0, 13
	s_delay_alu instid0(VALU_DEP_4)
	v_and_or_b32 v15, 0x8000, v25, v15
	s_or_b32 vcc_lo, s0, vcc_lo
	v_add_co_ci_u32_e32 v12, vcc_lo, 0, v12, vcc_lo
	v_cmp_ne_u32_e32 vcc_lo, 0, v30
	v_lshrrev_b32_e32 v29, v9, v26
	v_and_b32_e32 v15, 0xffff, v15
	v_cndmask_b32_e64 v24, 0, 1, vcc_lo
	s_delay_alu instid0(VALU_DEP_3) | instskip(SKIP_1) | instid1(VALU_DEP_3)
	v_lshlrev_b32_e32 v9, v9, v29
	v_cmp_gt_i32_e32 vcc_lo, 31, v28
	v_lshl_or_b32 v30, v24, 9, 0x7c00
	v_cvt_f64_f32_e32 v[24:25], v6
	v_cndmask_b32_e32 v12, 0x7c00, v12, vcc_lo
	v_cmp_ne_u32_e32 vcc_lo, v9, v26
	v_mul_f64 v[20:21], v[20:21], s[8:9]
	v_and_or_b32 v22, 0x1ff, v23, v22
	v_add_nc_u32_e32 v6, 0xfffffc10, v31
	v_cndmask_b32_e64 v9, 0, 1, vcc_lo
	v_cmp_eq_u32_e32 vcc_lo, 0x40f, v28
	v_lshrrev_b32_e32 v28, 8, v23
	s_delay_alu instid0(VALU_DEP_4) | instskip(NEXT) | instid1(VALU_DEP_4)
	v_lshl_or_b32 v26, v6, 12, v4
	v_or_b32_e32 v9, v29, v9
	v_cndmask_b32_e32 v12, v12, v30, vcc_lo
	v_cmp_ne_u32_e32 vcc_lo, 0, v22
	v_bfe_u32 v29, v23, 20, 11
	v_lshrrev_b32_e32 v23, 16, v23
	s_delay_alu instid0(VALU_DEP_4) | instskip(SKIP_2) | instid1(VALU_DEP_3)
	v_and_or_b32 v12, 0x8000, v27, v12
	v_cndmask_b32_e64 v22, 0, 1, vcc_lo
	v_cmp_gt_i32_e32 vcc_lo, 1, v6
	v_lshl_or_b32 v2, v12, 16, v15
	s_delay_alu instid0(VALU_DEP_3)
	v_and_or_b32 v22, 0xffe, v28, v22
	v_cndmask_b32_e32 v9, v26, v9, vcc_lo
	v_sub_nc_u32_e32 v26, 0x3f1, v29
	v_lshrrev_b32_e32 v15, 16, v14
	v_add_nc_u32_e32 v29, 0xfffffc10, v29
	v_or_b32_e32 v28, 0x1000, v22
	v_and_b32_e32 v27, 7, v9
	v_med3_i32 v26, v26, 0, 13
	v_lshrrev_b32_e32 v9, 2, v9
	global_store_b32 v[18:19], v2, off
	v_cmp_lt_i32_e32 vcc_lo, 5, v27
	v_lshrrev_b32_e32 v12, v26, v28
	v_cmp_eq_u32_e64 s0, 3, v27
	v_mul_f16_e32 v27, v109, v15
	v_mul_f64 v[24:25], v[24:25], s[8:9]
	s_delay_alu instid0(VALU_DEP_4) | instskip(NEXT) | instid1(VALU_DEP_4)
	v_lshlrev_b32_e32 v26, v26, v12
	s_or_b32 vcc_lo, s0, vcc_lo
	s_delay_alu instid0(VALU_DEP_3) | instskip(SKIP_3) | instid1(VALU_DEP_4)
	v_fmac_f16_e32 v27, v98, v14
	v_add_co_ci_u32_e32 v9, vcc_lo, 0, v9, vcc_lo
	v_and_or_b32 v20, 0x1ff, v21, v20
	v_cmp_ne_u32_e32 vcc_lo, v26, v28
	v_cvt_f32_f16_e32 v26, v27
	v_lshrrev_b32_e32 v30, 8, v21
	v_bfe_u32 v31, v21, 20, 11
	v_cndmask_b32_e64 v28, 0, 1, vcc_lo
	v_cmp_ne_u32_e32 vcc_lo, 0, v20
	v_cvt_f64_f32_e32 v[26:27], v26
	s_delay_alu instid0(VALU_DEP_3) | instskip(SKIP_3) | instid1(VALU_DEP_3)
	v_or_b32_e32 v12, v12, v28
	v_cndmask_b32_e64 v20, 0, 1, vcc_lo
	v_cmp_ne_u32_e32 vcc_lo, 0, v4
	v_lshl_or_b32 v28, v29, 12, v22
	v_and_or_b32 v20, 0xffe, v30, v20
	v_cndmask_b32_e64 v4, 0, 1, vcc_lo
	v_cmp_gt_i32_e32 vcc_lo, 1, v29
	v_sub_nc_u32_e32 v30, 0x3f1, v31
	s_delay_alu instid0(VALU_DEP_3) | instskip(SKIP_4) | instid1(VALU_DEP_4)
	v_lshl_or_b32 v4, v4, 9, 0x7c00
	v_cndmask_b32_e32 v12, v28, v12, vcc_lo
	v_cmp_gt_i32_e32 vcc_lo, 31, v6
	v_or_b32_e32 v28, 0x1000, v20
	v_med3_i32 v30, v30, 0, 13
	v_dual_cndmask_b32 v9, 0x7c00, v9 :: v_dual_and_b32 v32, 7, v12
	v_cmp_eq_u32_e32 vcc_lo, 0x40f, v6
	s_delay_alu instid0(VALU_DEP_3) | instskip(SKIP_1) | instid1(VALU_DEP_4)
	v_lshrrev_b32_e32 v2, v30, v28
	v_lshrrev_b32_e32 v6, 16, v10
	v_cmp_eq_u32_e64 s0, 3, v32
	v_lshrrev_b32_e32 v10, 2, v12
	v_cndmask_b32_e32 v4, v9, v4, vcc_lo
	v_cmp_lt_i32_e32 vcc_lo, 5, v32
	v_lshlrev_b32_e32 v9, v30, v2
	v_mul_f16_e32 v12, v109, v14
	v_and_or_b32 v14, 0x1ff, v25, v24
	v_and_or_b32 v4, 0x8000, v6, v4
	s_or_b32 vcc_lo, s0, vcc_lo
	v_cmp_ne_u32_e64 s1, v9, v28
	v_add_co_ci_u32_e32 v24, vcc_lo, 0, v10, vcc_lo
	v_fma_f16 v12, v98, v15, -v12
	v_cmp_ne_u32_e32 vcc_lo, 0, v14
	s_delay_alu instid0(VALU_DEP_4)
	v_cndmask_b32_e64 v9, 0, 1, s1
	v_add_nc_u32_e32 v28, 0xfffffc10, v31
	v_and_b32_e32 v4, 0xffff, v4
	v_cvt_f32_f16_e32 v12, v12
	v_cndmask_b32_e64 v31, 0, 1, vcc_lo
	v_cmp_ne_u32_e32 vcc_lo, 0, v22
	v_or_b32_e32 v2, v2, v9
	v_lshl_or_b32 v30, v28, 12, v20
	v_mul_f64 v[9:10], v[26:27], s[8:9]
	v_cvt_f64_f32_e32 v[14:15], v12
	v_lshrrev_b32_e32 v12, 8, v25
	v_bfe_u32 v26, v25, 20, 11
	v_cndmask_b32_e64 v22, 0, 1, vcc_lo
	v_cmp_gt_i32_e32 vcc_lo, 1, v28
	v_cmp_eq_u32_e64 s1, 0x40f, v28
	v_and_or_b32 v12, 0xffe, v12, v31
	v_sub_nc_u32_e32 v27, 0x3f1, v26
	v_lshl_or_b32 v22, v22, 9, 0x7c00
	v_cndmask_b32_e32 v2, v30, v2, vcc_lo
	v_cmp_gt_i32_e32 vcc_lo, 31, v29
	v_or_b32_e32 v31, 0x1000, v12
	v_med3_i32 v27, v27, 0, 13
	v_add_nc_u32_e32 v26, 0xfffffc10, v26
	v_and_b32_e32 v30, 7, v2
	v_cndmask_b32_e32 v24, 0x7c00, v24, vcc_lo
	v_cmp_eq_u32_e32 vcc_lo, 0x40f, v29
	v_lshrrev_b32_e32 v6, v27, v31
	v_lshrrev_b32_e32 v2, 2, v2
	v_cmp_eq_u32_e64 s0, 3, v30
	v_cndmask_b32_e32 v22, v24, v22, vcc_lo
	v_cmp_lt_i32_e32 vcc_lo, 5, v30
	s_delay_alu instid0(VALU_DEP_2) | instskip(SKIP_4) | instid1(VALU_DEP_3)
	v_and_or_b32 v24, 0x8000, v23, v22
	v_lshlrev_b32_e32 v22, v27, v6
	s_or_b32 vcc_lo, s0, vcc_lo
	v_lshrrev_b32_e32 v27, 16, v8
	v_add_co_ci_u32_e32 v2, vcc_lo, 0, v2, vcc_lo
	v_cmp_ne_u32_e32 vcc_lo, v22, v31
	v_lshl_or_b32 v4, v24, 16, v4
	s_delay_alu instid0(VALU_DEP_4)
	v_mul_f16_e32 v23, v107, v27
	v_cndmask_b32_e64 v22, 0, 1, vcc_lo
	v_cmp_gt_i32_e32 vcc_lo, 31, v28
	v_and_or_b32 v9, 0x1ff, v10, v9
	v_mul_f64 v[14:15], v[14:15], s[8:9]
	v_fmac_f16_e32 v23, v93, v8
	v_or_b32_e32 v6, v6, v22
	v_cndmask_b32_e32 v2, 0x7c00, v2, vcc_lo
	v_cmp_ne_u32_e32 vcc_lo, 0, v20
	v_lshl_or_b32 v22, v26, 12, v12
	v_cvt_f32_f16_e32 v23, v23
	v_bfe_u32 v29, v10, 20, 11
	v_mul_f16_e32 v8, v107, v8
	v_cndmask_b32_e64 v20, 0, 1, vcc_lo
	v_cmp_gt_i32_e32 vcc_lo, 1, v26
	s_delay_alu instid0(VALU_DEP_4) | instskip(NEXT) | instid1(VALU_DEP_4)
	v_add_nc_u32_e32 v24, 0xfffffc10, v29
	v_fma_f16 v8, v93, v27, -v8
	s_delay_alu instid0(VALU_DEP_4)
	v_lshl_or_b32 v20, v20, 9, 0x7c00
	v_cndmask_b32_e32 v6, v22, v6, vcc_lo
	v_cmp_ne_u32_e32 vcc_lo, 0, v9
	v_lshrrev_b32_e32 v22, 8, v10
	v_cvt_f32_f16_e32 v28, v8
	v_cndmask_b32_e64 v2, v2, v20, s1
	v_and_b32_e32 v30, 7, v6
	v_cndmask_b32_e64 v9, 0, 1, vcc_lo
	v_lshrrev_b32_e32 v6, 2, v6
	v_lshrrev_b32_e32 v20, 16, v21
	;; [unrolled: 1-line block ×3, first 2 shown]
	v_cmp_lt_i32_e32 vcc_lo, 5, v30
	v_and_or_b32 v31, 0xffe, v22, v9
	v_cvt_f64_f32_e32 v[22:23], v23
	v_sub_nc_u32_e32 v9, 0x3f1, v29
	v_cmp_eq_u32_e64 s0, 3, v30
	v_and_or_b32 v2, 0x8000, v20, v2
	v_or_b32_e32 v30, 0x1000, v31
	v_lshl_or_b32 v20, v24, 12, v31
	v_med3_i32 v9, v9, 0, 13
	s_or_b32 vcc_lo, s0, vcc_lo
	v_and_b32_e32 v2, 0xffff, v2
	v_add_co_ci_u32_e32 v6, vcc_lo, 0, v6, vcc_lo
	s_delay_alu instid0(VALU_DEP_3) | instskip(SKIP_3) | instid1(VALU_DEP_4)
	v_lshrrev_b32_e32 v21, v9, v30
	v_cmp_gt_i32_e32 vcc_lo, 31, v26
	v_and_or_b32 v14, 0x1ff, v15, v14
	v_bfe_u32 v27, v15, 20, 11
	v_dual_cndmask_b32 v6, 0x7c00, v6 :: v_dual_lshlrev_b32 v9, v9, v21
	v_cmp_ne_u32_e32 vcc_lo, 0, v12
	v_cndmask_b32_e64 v12, 0, 1, vcc_lo
	s_delay_alu instid0(VALU_DEP_3) | instskip(SKIP_1) | instid1(VALU_DEP_3)
	v_cmp_ne_u32_e32 vcc_lo, v9, v30
	v_sub_nc_u32_e32 v30, 0x3f1, v27
	v_lshl_or_b32 v12, v12, 9, 0x7c00
	v_cndmask_b32_e64 v9, 0, 1, vcc_lo
	v_cmp_ne_u32_e32 vcc_lo, 0, v14
	s_delay_alu instid0(VALU_DEP_2) | instskip(SKIP_3) | instid1(VALU_DEP_2)
	v_or_b32_e32 v9, v21, v9
	v_cndmask_b32_e64 v14, 0, 1, vcc_lo
	v_lshrrev_b32_e32 v21, 8, v15
	v_cmp_gt_i32_e32 vcc_lo, 1, v24
	v_and_or_b32 v14, 0xffe, v21, v14
	v_cndmask_b32_e32 v29, v20, v9, vcc_lo
	v_mul_f64 v[8:9], v[22:23], s[8:9]
	v_cvt_f64_f32_e32 v[20:21], v28
	v_cmp_eq_u32_e32 vcc_lo, 0x40f, v26
	v_or_b32_e32 v23, 0x1000, v14
	v_and_b32_e32 v22, 7, v29
	v_lshrrev_b32_e32 v26, 16, v5
	v_cndmask_b32_e32 v6, v6, v12, vcc_lo
	v_lshrrev_b32_e32 v12, 16, v25
	v_med3_i32 v25, v30, 0, 13
	v_add_co_u32 v18, vcc_lo, v18, s3
	v_add_co_ci_u32_e32 v19, vcc_lo, s2, v19, vcc_lo
	s_delay_alu instid0(VALU_DEP_4) | instskip(NEXT) | instid1(VALU_DEP_4)
	v_and_or_b32 v6, 0x8000, v12, v6
	v_lshrrev_b32_e32 v12, v25, v23
	v_cmp_lt_i32_e32 vcc_lo, 5, v22
	v_cmp_eq_u32_e64 s0, 3, v22
	global_store_b32 v[18:19], v4, off
	v_lshrrev_b32_e32 v4, 2, v29
	v_lshlrev_b32_e32 v22, v25, v12
	v_lshl_or_b32 v2, v6, 16, v2
	s_or_b32 vcc_lo, s0, vcc_lo
	v_add_nc_u32_e32 v25, 0xfffffc10, v27
	v_add_co_ci_u32_e32 v4, vcc_lo, 0, v4, vcc_lo
	v_cmp_ne_u32_e32 vcc_lo, v22, v23
	v_mul_f16_e32 v22, v105, v26
	v_cndmask_b32_e64 v6, 0, 1, vcc_lo
	v_cmp_gt_i32_e32 vcc_lo, 31, v24
	s_delay_alu instid0(VALU_DEP_3) | instskip(SKIP_1) | instid1(VALU_DEP_4)
	v_fmac_f16_e32 v22, v92, v5
	v_mul_f16_e32 v5, v105, v5
	v_or_b32_e32 v6, v12, v6
	v_cndmask_b32_e32 v4, 0x7c00, v4, vcc_lo
	v_cmp_ne_u32_e32 vcc_lo, 0, v31
	v_lshl_or_b32 v12, v25, 12, v14
	v_and_or_b32 v8, 0x1ff, v9, v8
	v_mul_f64 v[20:21], v[20:21], s[8:9]
	v_cvt_f32_f16_e32 v22, v22
	v_cndmask_b32_e64 v23, 0, 1, vcc_lo
	v_cmp_gt_i32_e32 vcc_lo, 1, v25
	v_lshrrev_b32_e32 v28, 8, v9
	v_bfe_u32 v29, v9, 20, 11
	v_fma_f16 v5, v92, v26, -v5
	v_cndmask_b32_e32 v6, v12, v6, vcc_lo
	v_cmp_ne_u32_e32 vcc_lo, 0, v8
	v_lshl_or_b32 v12, v23, 9, 0x7c00
	v_cvt_f64_f32_e32 v[22:23], v22
	v_cvt_f32_f16_e32 v5, v5
	v_and_b32_e32 v27, 7, v6
	v_cndmask_b32_e64 v8, 0, 1, vcc_lo
	v_cmp_eq_u32_e32 vcc_lo, 0x40f, v24
	v_lshrrev_b32_e32 v6, 2, v6
	s_delay_alu instid0(VALU_DEP_4) | instskip(NEXT) | instid1(VALU_DEP_4)
	v_cmp_eq_u32_e64 s0, 3, v27
	v_and_or_b32 v8, 0xffe, v28, v8
	v_cndmask_b32_e32 v12, v4, v12, vcc_lo
	v_cmp_lt_i32_e32 vcc_lo, 5, v27
	v_sub_nc_u32_e32 v4, 0x3f1, v29
	s_delay_alu instid0(VALU_DEP_4) | instskip(NEXT) | instid1(VALU_DEP_4)
	v_or_b32_e32 v24, 0x1000, v8
	v_and_or_b32 v10, 0x8000, v10, v12
	s_or_b32 vcc_lo, s0, vcc_lo
	s_delay_alu instid0(VALU_DEP_3) | instskip(SKIP_3) | instid1(VALU_DEP_4)
	v_med3_i32 v4, v4, 0, 13
	v_add_co_ci_u32_e32 v6, vcc_lo, 0, v6, vcc_lo
	v_cmp_ne_u32_e32 vcc_lo, 0, v14
	v_and_b32_e32 v10, 0xffff, v10
	v_lshrrev_b32_e32 v27, v4, v24
	v_cndmask_b32_e64 v14, 0, 1, vcc_lo
	v_cmp_gt_i32_e32 vcc_lo, 31, v25
	s_delay_alu instid0(VALU_DEP_3)
	v_lshlrev_b32_e32 v26, v4, v27
	v_cvt_f64_f32_e32 v[4:5], v5
	v_and_or_b32 v20, 0x1ff, v21, v20
	v_lshl_or_b32 v14, v14, 9, 0x7c00
	v_cndmask_b32_e32 v6, 0x7c00, v6, vcc_lo
	v_cmp_eq_u32_e32 vcc_lo, 0x40f, v25
	s_delay_alu instid0(VALU_DEP_2)
	v_cndmask_b32_e32 v6, v6, v14, vcc_lo
	v_cmp_ne_u32_e32 vcc_lo, v26, v24
	v_lshrrev_b32_e32 v14, 16, v15
	v_add_nc_u32_e32 v24, 0xfffffc10, v29
	v_lshrrev_b32_e32 v26, 8, v21
	v_cndmask_b32_e64 v15, 0, 1, vcc_lo
	v_cmp_ne_u32_e32 vcc_lo, 0, v20
	v_and_or_b32 v6, 0x8000, v14, v6
	v_lshl_or_b32 v25, v24, 12, v8
	s_delay_alu instid0(VALU_DEP_4)
	v_or_b32_e32 v12, v27, v15
	v_cndmask_b32_e64 v20, 0, 1, vcc_lo
	v_bfe_u32 v27, v21, 20, 11
	v_mul_f64 v[14:15], v[22:23], s[8:9]
	v_cmp_gt_i32_e32 vcc_lo, 1, v24
	v_lshl_or_b32 v6, v6, 16, v10
	v_and_or_b32 v20, 0xffe, v26, v20
	v_sub_nc_u32_e32 v22, 0x3f1, v27
	v_cndmask_b32_e32 v12, v25, v12, vcc_lo
	v_add_co_u32 v18, vcc_lo, v18, s3
	v_add_co_ci_u32_e32 v19, vcc_lo, s2, v19, vcc_lo
	v_or_b32_e32 v25, 0x1000, v20
	v_med3_i32 v26, v22, 0, 13
	v_and_b32_e32 v10, 7, v12
	v_add_co_u32 v22, vcc_lo, v18, s3
	v_add_co_ci_u32_e32 v23, vcc_lo, s2, v19, vcc_lo
	global_store_b32 v[18:19], v2, off
	v_lshrrev_b32_e32 v2, v26, v25
	v_cmp_lt_i32_e32 vcc_lo, 5, v10
	v_cmp_eq_u32_e64 s0, 3, v10
	global_store_b32 v[22:23], v6, off
	v_lshrrev_b32_e32 v6, 2, v12
	v_lshlrev_b32_e32 v10, v26, v2
	v_mul_f64 v[4:5], v[4:5], s[8:9]
	s_or_b32 vcc_lo, s0, vcc_lo
	v_add_nc_u32_e32 v12, 0xfffffc10, v27
	v_add_co_ci_u32_e32 v6, vcc_lo, 0, v6, vcc_lo
	v_cmp_ne_u32_e32 vcc_lo, v10, v25
	v_lshrrev_b32_e32 v25, 16, v16
	v_cndmask_b32_e64 v10, 0, 1, vcc_lo
	v_cmp_gt_i32_e32 vcc_lo, 31, v24
	s_delay_alu instid0(VALU_DEP_3)
	v_mul_f16_e32 v18, v103, v25
	v_and_or_b32 v14, 0x1ff, v15, v14
	v_bfe_u32 v26, v15, 20, 11
	v_or_b32_e32 v2, v2, v10
	v_cndmask_b32_e32 v6, 0x7c00, v6, vcc_lo
	v_cmp_ne_u32_e32 vcc_lo, 0, v8
	v_lshl_or_b32 v10, v12, 12, v20
	v_fmac_f16_e32 v18, v90, v16
	v_cndmask_b32_e64 v8, 0, 1, vcc_lo
	v_cmp_gt_i32_e32 vcc_lo, 1, v12
	s_delay_alu instid0(VALU_DEP_3) | instskip(NEXT) | instid1(VALU_DEP_3)
	v_cvt_f32_f16_e32 v18, v18
	v_lshl_or_b32 v8, v8, 9, 0x7c00
	v_cndmask_b32_e32 v2, v10, v2, vcc_lo
	v_cmp_ne_u32_e32 vcc_lo, 0, v14
	v_lshrrev_b32_e32 v14, 8, v15
	v_cvt_f64_f32_e32 v[18:19], v18
	v_lshrrev_b32_e32 v15, 16, v15
	v_and_b32_e32 v27, 7, v2
	v_cndmask_b32_e64 v10, 0, 1, vcc_lo
	v_cmp_eq_u32_e32 vcc_lo, 0x40f, v24
	v_lshrrev_b32_e32 v2, 2, v2
	v_lshrrev_b32_e32 v24, 16, v9
	v_cmp_eq_u32_e64 s0, 3, v27
	v_and_or_b32 v10, 0xffe, v14, v10
	v_sub_nc_u32_e32 v14, 0x3f1, v26
	v_cndmask_b32_e32 v6, v6, v8, vcc_lo
	v_cmp_lt_i32_e32 vcc_lo, 5, v27
	v_and_or_b32 v4, 0x1ff, v5, v4
	v_or_b32_e32 v8, 0x1000, v10
	v_med3_i32 v14, v14, 0, 13
	v_bfe_u32 v28, v5, 20, 11
	s_or_b32 vcc_lo, s0, vcc_lo
	v_add_nc_u32_e32 v26, 0xfffffc10, v26
	v_add_co_ci_u32_e32 v2, vcc_lo, 0, v2, vcc_lo
	v_lshrrev_b32_e32 v27, v14, v8
	v_cmp_ne_u32_e32 vcc_lo, 0, v4
	v_and_or_b32 v6, 0x8000, v24, v6
	v_lshrrev_b32_e32 v24, 16, v0
	s_delay_alu instid0(VALU_DEP_4)
	v_lshlrev_b32_e32 v9, v14, v27
	v_mul_f16_e32 v14, v103, v16
	v_cndmask_b32_e64 v4, 0, 1, vcc_lo
	v_lshrrev_b32_e32 v16, 8, v5
	v_cmp_ne_u32_e32 vcc_lo, 0, v20
	v_and_b32_e32 v6, 0xffff, v6
	v_fma_f16 v14, v90, v25, -v14
	s_delay_alu instid0(VALU_DEP_4)
	v_and_or_b32 v4, 0xffe, v16, v4
	v_cndmask_b32_e64 v20, 0, 1, vcc_lo
	v_sub_nc_u32_e32 v16, 0x3f1, v28
	v_cmp_ne_u32_e32 vcc_lo, v9, v8
	v_cvt_f32_f16_e32 v14, v14
	v_or_b32_e32 v29, 0x1000, v4
	v_mul_f64 v[18:19], v[18:19], s[8:9]
	v_med3_i32 v16, v16, 0, 13
	v_cndmask_b32_e64 v25, 0, 1, vcc_lo
	v_cmp_gt_i32_e32 vcc_lo, 31, v12
	v_cvt_f64_f32_e32 v[8:9], v14
	v_lshl_or_b32 v20, v20, 9, 0x7c00
	s_delay_alu instid0(VALU_DEP_4) | instskip(SKIP_4) | instid1(VALU_DEP_2)
	v_or_b32_e32 v14, v27, v25
	v_cndmask_b32_e32 v2, 0x7c00, v2, vcc_lo
	v_lshl_or_b32 v25, v26, 12, v10
	v_lshrrev_b32_e32 v27, v16, v29
	v_cmp_gt_i32_e32 vcc_lo, 1, v26
	v_lshlrev_b32_e32 v16, v16, v27
	s_delay_alu instid0(VALU_DEP_4)
	v_cndmask_b32_e32 v14, v25, v14, vcc_lo
	v_cmp_eq_u32_e32 vcc_lo, 0x40f, v12
	v_lshrrev_b32_e32 v12, 16, v21
	v_add_nc_u32_e32 v25, 0xfffffc10, v28
	v_cndmask_b32_e32 v2, v2, v20, vcc_lo
	v_and_b32_e32 v20, 7, v14
	v_cmp_ne_u32_e32 vcc_lo, v16, v29
	v_lshrrev_b32_e32 v14, 2, v14
	v_cmp_gt_i32_e64 s1, 1, v25
	v_and_or_b32 v2, 0x8000, v12, v2
	v_cmp_eq_u32_e64 s0, 3, v20
	v_cndmask_b32_e64 v16, 0, 1, vcc_lo
	v_cmp_lt_i32_e32 vcc_lo, 5, v20
	v_mul_f16_e32 v20, v100, v24
	v_lshl_or_b32 v2, v2, 16, v6
	s_delay_alu instid0(VALU_DEP_4)
	v_or_b32_e32 v12, v27, v16
	v_lshl_or_b32 v16, v25, 12, v4
	s_or_b32 vcc_lo, s0, vcc_lo
	v_fmac_f16_e32 v20, v88, v0
	v_add_co_ci_u32_e32 v14, vcc_lo, 0, v14, vcc_lo
	v_cmp_ne_u32_e32 vcc_lo, 0, v10
	v_cndmask_b32_e64 v12, v16, v12, s1
	v_cmp_eq_u32_e64 s1, 0x40f, v26
	v_mul_f64 v[8:9], v[8:9], s[8:9]
	v_mul_f16_e32 v0, v100, v0
	v_cndmask_b32_e64 v10, 0, 1, vcc_lo
	v_cmp_gt_i32_e32 vcc_lo, 31, v26
	v_and_b32_e32 v16, 7, v12
	v_lshrrev_b32_e32 v12, 2, v12
	v_bfe_u32 v26, v19, 20, 11
	v_lshl_or_b32 v10, v10, 9, 0x7c00
	v_cndmask_b32_e32 v14, 0x7c00, v14, vcc_lo
	v_cmp_lt_i32_e32 vcc_lo, 5, v16
	v_cmp_eq_u32_e64 s0, 3, v16
	v_cvt_f32_f16_e32 v16, v20
	v_fma_f16 v0, v88, v24, -v0
	v_cndmask_b32_e64 v10, v14, v10, s1
	v_and_or_b32 v14, 0x1ff, v19, v18
	s_or_b32 vcc_lo, s0, vcc_lo
	v_cvt_f64_f32_e32 v[20:21], v16
	v_add_co_ci_u32_e32 v12, vcc_lo, 0, v12, vcc_lo
	s_delay_alu instid0(VALU_DEP_3)
	v_cmp_ne_u32_e32 vcc_lo, 0, v14
	v_lshrrev_b32_e32 v18, 8, v19
	v_cvt_f32_f16_e32 v0, v0
	v_and_or_b32 v10, 0x8000, v15, v10
	v_lshrrev_b32_e32 v27, 16, v5
	v_cndmask_b32_e64 v14, 0, 1, vcc_lo
	v_cmp_ne_u32_e32 vcc_lo, 0, v4
	s_delay_alu instid0(VALU_DEP_4) | instskip(NEXT) | instid1(VALU_DEP_3)
	v_and_b32_e32 v10, 0xffff, v10
	v_and_or_b32 v16, 0xffe, v18, v14
	v_sub_nc_u32_e32 v14, 0x3f1, v26
	v_cndmask_b32_e64 v4, 0, 1, vcc_lo
	v_cmp_gt_i32_e32 vcc_lo, 31, v25
	v_add_nc_u32_e32 v26, 0xfffffc10, v26
	v_or_b32_e32 v18, 0x1000, v16
	v_med3_i32 v14, v14, 0, 13
	v_lshl_or_b32 v4, v4, 9, 0x7c00
	v_cndmask_b32_e32 v12, 0x7c00, v12, vcc_lo
	v_cmp_eq_u32_e32 vcc_lo, 0x40f, v25
	v_and_or_b32 v8, 0x1ff, v9, v8
	v_lshrrev_b32_e32 v25, v14, v18
	v_bfe_u32 v24, v9, 20, 11
	v_cndmask_b32_e32 v12, v12, v4, vcc_lo
	v_mad_u64_u32 v[4:5], null, 0xfffff980, s4, v[22:23]
	s_delay_alu instid0(VALU_DEP_4) | instskip(SKIP_1) | instid1(VALU_DEP_4)
	v_lshlrev_b32_e32 v14, v14, v25
	v_lshl_or_b32 v22, v26, 12, v16
	v_and_or_b32 v12, 0x8000, v27, v12
	v_add_nc_u32_e32 v27, 0xfffffc10, v24
	s_delay_alu instid0(VALU_DEP_4) | instskip(SKIP_1) | instid1(VALU_DEP_4)
	v_cmp_ne_u32_e32 vcc_lo, v14, v18
	v_cvt_f64_f32_e32 v[14:15], v0
	v_lshl_or_b32 v6, v12, 16, v10
	v_mul_f64 v[20:21], v[20:21], s[8:9]
	v_add_nc_u32_e32 v5, s5, v5
	v_cndmask_b32_e64 v18, 0, 1, vcc_lo
	v_cmp_ne_u32_e32 vcc_lo, 0, v8
	v_lshrrev_b32_e32 v8, 8, v9
	v_lshrrev_b32_e32 v9, 16, v9
	s_delay_alu instid0(VALU_DEP_4) | instskip(SKIP_2) | instid1(VALU_DEP_2)
	v_or_b32_e32 v18, v25, v18
	v_cndmask_b32_e64 v0, 0, 1, vcc_lo
	v_cmp_gt_i32_e32 vcc_lo, 1, v26
	v_and_or_b32 v0, 0xffe, v8, v0
	v_sub_nc_u32_e32 v8, 0x3f1, v24
	v_cndmask_b32_e32 v18, v22, v18, vcc_lo
	v_add_co_u32 v22, vcc_lo, v4, s3
	s_delay_alu instid0(VALU_DEP_4) | instskip(NEXT) | instid1(VALU_DEP_4)
	v_or_b32_e32 v25, 0x1000, v0
	v_med3_i32 v8, v8, 0, 13
	s_delay_alu instid0(VALU_DEP_4) | instskip(SKIP_2) | instid1(VALU_DEP_4)
	v_and_b32_e32 v10, 7, v18
	v_add_co_ci_u32_e32 v23, vcc_lo, s2, v5, vcc_lo
	v_lshrrev_b32_e32 v18, 2, v18
	v_lshrrev_b32_e32 v12, v8, v25
	s_delay_alu instid0(VALU_DEP_4)
	v_cmp_lt_i32_e32 vcc_lo, 5, v10
	v_cmp_eq_u32_e64 s0, 3, v10
	v_lshrrev_b32_e32 v10, 16, v11
	global_store_b32 v[4:5], v2, off
	global_store_b32 v[22:23], v6, off
	v_lshlrev_b32_e32 v8, v8, v12
	s_or_b32 vcc_lo, s0, vcc_lo
	v_mul_f16_e32 v24, v97, v10
	v_add_co_ci_u32_e32 v18, vcc_lo, 0, v18, vcc_lo
	s_delay_alu instid0(VALU_DEP_3) | instskip(SKIP_1) | instid1(VALU_DEP_4)
	v_cmp_ne_u32_e64 s1, v8, v25
	v_cmp_ne_u32_e32 vcc_lo, 0, v16
	v_fmac_f16_e32 v24, v86, v11
	v_mul_f64 v[14:15], v[14:15], s[8:9]
	v_and_or_b32 v20, 0x1ff, v21, v20
	v_cndmask_b32_e64 v8, 0, 1, s1
	v_cndmask_b32_e64 v16, 0, 1, vcc_lo
	v_cmp_gt_i32_e32 vcc_lo, 1, v27
	v_cvt_f32_f16_e32 v24, v24
	v_cmp_ne_u32_e64 s0, 0, v20
	v_or_b32_e32 v8, v12, v8
	v_lshl_or_b32 v12, v27, 12, v0
	v_lshl_or_b32 v16, v16, 9, 0x7c00
	v_cvt_f64_f32_e32 v[24:25], v24
	v_lshrrev_b32_e32 v20, 8, v21
	v_mul_f16_e32 v11, v97, v11
	v_cndmask_b32_e32 v8, v12, v8, vcc_lo
	v_cmp_gt_i32_e32 vcc_lo, 31, v26
	s_delay_alu instid0(VALU_DEP_3) | instskip(SKIP_1) | instid1(VALU_DEP_4)
	v_fma_f16 v10, v86, v10, -v11
	v_cndmask_b32_e32 v12, 0x7c00, v18, vcc_lo
	v_and_b32_e32 v18, 7, v8
	v_cmp_eq_u32_e32 vcc_lo, 0x40f, v26
	v_lshrrev_b32_e32 v8, 2, v8
	s_delay_alu instid0(VALU_DEP_4) | instskip(SKIP_4) | instid1(VALU_DEP_4)
	v_cndmask_b32_e32 v12, v12, v16, vcc_lo
	v_lshrrev_b32_e32 v16, 16, v19
	v_cmp_lt_i32_e32 vcc_lo, 5, v18
	v_cndmask_b32_e64 v19, 0, 1, s0
	v_cmp_eq_u32_e64 s0, 3, v18
	v_and_or_b32 v12, 0x8000, v16, v12
	v_bfe_u32 v16, v21, 20, 11
	s_delay_alu instid0(VALU_DEP_4) | instskip(NEXT) | instid1(VALU_DEP_4)
	v_and_or_b32 v20, 0xffe, v20, v19
	s_or_b32 vcc_lo, s0, vcc_lo
	v_add_co_ci_u32_e32 v8, vcc_lo, 0, v8, vcc_lo
	v_cmp_ne_u32_e32 vcc_lo, 0, v0
	v_sub_nc_u32_e32 v18, 0x3f1, v16
	v_or_b32_e32 v26, 0x1000, v20
	v_and_or_b32 v11, 0x1ff, v15, v14
	v_lshrrev_b32_e32 v29, 8, v15
	v_cndmask_b32_e64 v0, 0, 1, vcc_lo
	v_cmp_gt_i32_e32 vcc_lo, 31, v27
	v_med3_i32 v18, v18, 0, 13
	v_add_nc_u32_e32 v16, 0xfffffc10, v16
	s_delay_alu instid0(VALU_DEP_4) | instskip(SKIP_4) | instid1(VALU_DEP_4)
	v_lshl_or_b32 v0, v0, 9, 0x7c00
	v_cndmask_b32_e32 v8, 0x7c00, v8, vcc_lo
	v_cmp_eq_u32_e32 vcc_lo, 0x40f, v27
	v_lshrrev_b32_e32 v28, v18, v26
	v_cmp_eq_u32_e64 s1, 0x40f, v16
	v_cndmask_b32_e32 v0, v8, v0, vcc_lo
	v_cvt_f32_f16_e32 v8, v10
	s_delay_alu instid0(VALU_DEP_4)
	v_lshlrev_b32_e32 v14, v18, v28
	v_cmp_ne_u32_e32 vcc_lo, 0, v11
	v_mul_f64 v[18:19], v[24:25], s[8:9]
	v_and_or_b32 v0, 0x8000, v9, v0
	v_cvt_f64_f32_e32 v[10:11], v8
	v_bfe_u32 v8, v15, 20, 11
	v_cndmask_b32_e64 v27, 0, 1, vcc_lo
	v_cmp_ne_u32_e32 vcc_lo, v14, v26
	v_lshl_or_b32 v26, v16, 12, v20
	v_and_b32_e32 v9, 0xffff, v12
	v_sub_nc_u32_e32 v25, 0x3f1, v8
	v_and_or_b32 v24, 0xffe, v29, v27
	v_cndmask_b32_e64 v14, 0, 1, vcc_lo
	v_cmp_gt_i32_e32 vcc_lo, 1, v16
	v_lshl_or_b32 v0, v0, 16, v9
	v_med3_i32 v25, v25, 0, 13
	v_or_b32_e32 v27, 0x1000, v24
	v_or_b32_e32 v14, v28, v14
	v_lshrrev_b32_e32 v15, 16, v15
	s_delay_alu instid0(VALU_DEP_2) | instskip(NEXT) | instid1(VALU_DEP_4)
	v_cndmask_b32_e32 v12, v26, v14, vcc_lo
	v_lshrrev_b32_e32 v14, v25, v27
	v_add_co_u32 v4, vcc_lo, v22, s3
	v_add_co_ci_u32_e32 v5, vcc_lo, s2, v23, vcc_lo
	s_delay_alu instid0(VALU_DEP_3)
	v_lshlrev_b32_e32 v6, v25, v14
	v_and_b32_e32 v2, 7, v12
	v_lshrrev_b32_e32 v25, 16, v3
	v_add_nc_u32_e32 v23, 0xfffffc10, v8
	global_store_b32 v[4:5], v0, off
	v_cmp_ne_u32_e64 s0, v6, v27
	v_cmp_lt_i32_e32 vcc_lo, 5, v2
	v_mul_f16_e32 v22, v95, v25
	s_delay_alu instid0(VALU_DEP_3) | instskip(SKIP_2) | instid1(VALU_DEP_4)
	v_cndmask_b32_e64 v6, 0, 1, s0
	v_cmp_eq_u32_e64 s0, 3, v2
	v_lshrrev_b32_e32 v2, 2, v12
	v_fmac_f16_e32 v22, v85, v3
	v_mul_f64 v[8:9], v[10:11], s[8:9]
	v_or_b32_e32 v6, v14, v6
	s_or_b32 vcc_lo, s0, vcc_lo
	v_lshl_or_b32 v12, v23, 12, v24
	v_add_co_ci_u32_e32 v2, vcc_lo, 0, v2, vcc_lo
	v_and_or_b32 v14, 0x1ff, v19, v18
	v_cmp_gt_i32_e32 vcc_lo, 1, v23
	v_cvt_f32_f16_e32 v10, v22
	v_bfe_u32 v18, v19, 20, 11
	v_mul_f16_e32 v3, v95, v3
	v_cndmask_b32_e32 v6, v12, v6, vcc_lo
	v_cmp_ne_u32_e32 vcc_lo, 0, v14
	v_cvt_f64_f32_e32 v[10:11], v10
	v_lshrrev_b32_e32 v14, 8, v19
	v_lshrrev_b32_e32 v19, 16, v19
	v_and_b32_e32 v22, 7, v6
	v_cndmask_b32_e64 v12, 0, 1, vcc_lo
	v_cmp_ne_u32_e32 vcc_lo, 0, v20
	v_lshrrev_b32_e32 v6, 2, v6
	s_delay_alu instid0(VALU_DEP_4) | instskip(NEXT) | instid1(VALU_DEP_4)
	v_cmp_eq_u32_e64 s0, 3, v22
	v_and_or_b32 v12, 0xffe, v14, v12
	v_cndmask_b32_e64 v20, 0, 1, vcc_lo
	v_sub_nc_u32_e32 v14, 0x3f1, v18
	v_cmp_gt_i32_e32 vcc_lo, 31, v16
	v_add_nc_u32_e32 v18, 0xfffffc10, v18
	v_or_b32_e32 v26, 0x1000, v12
	v_lshl_or_b32 v20, v20, 9, 0x7c00
	v_med3_i32 v14, v14, 0, 13
	v_cndmask_b32_e32 v2, 0x7c00, v2, vcc_lo
	v_cmp_lt_i32_e32 vcc_lo, 5, v22
	s_delay_alu instid0(VALU_DEP_2) | instskip(NEXT) | instid1(VALU_DEP_4)
	v_cndmask_b32_e64 v16, v2, v20, s1
	v_lshrrev_b32_e32 v20, v14, v26
	s_or_b32 vcc_lo, s0, vcc_lo
	v_add_co_ci_u32_e32 v2, vcc_lo, 0, v6, vcc_lo
	s_delay_alu instid0(VALU_DEP_2) | instskip(SKIP_2) | instid1(VALU_DEP_4)
	v_lshlrev_b32_e32 v14, v14, v20
	v_cmp_gt_i32_e32 vcc_lo, 31, v23
	v_lshrrev_b32_e32 v6, 16, v21
	v_cndmask_b32_e32 v21, 0x7c00, v2, vcc_lo
	v_fma_f16 v2, v85, v25, -v3
	v_and_or_b32 v3, 0x1ff, v9, v8
	v_cmp_ne_u32_e32 vcc_lo, v14, v26
	v_lshrrev_b32_e32 v25, 8, v9
	v_bfe_u32 v26, v9, 20, 11
	v_cvt_f32_f16_e32 v14, v2
	v_and_or_b32 v6, 0x8000, v6, v16
	v_cndmask_b32_e64 v8, 0, 1, vcc_lo
	v_cmp_ne_u32_e32 vcc_lo, 0, v3
	v_mul_f64 v[2:3], v[10:11], s[8:9]
	v_cvt_f64_f32_e32 v[10:11], v14
	v_and_b32_e32 v6, 0xffff, v6
	v_or_b32_e32 v8, v20, v8
	v_cndmask_b32_e64 v22, 0, 1, vcc_lo
	v_cmp_ne_u32_e32 vcc_lo, 0, v24
	v_sub_nc_u32_e32 v24, 0x3f1, v26
	v_lshl_or_b32 v20, v18, 12, v12
	s_delay_alu instid0(VALU_DEP_4) | instskip(SKIP_3) | instid1(VALU_DEP_4)
	v_and_or_b32 v22, 0xffe, v25, v22
	v_cndmask_b32_e64 v14, 0, 1, vcc_lo
	v_cmp_gt_i32_e32 vcc_lo, 1, v18
	v_med3_i32 v24, v24, 0, 13
	v_or_b32_e32 v25, 0x1000, v22
	s_delay_alu instid0(VALU_DEP_4) | instskip(SKIP_2) | instid1(VALU_DEP_4)
	v_lshl_or_b32 v14, v14, 9, 0x7c00
	v_cndmask_b32_e32 v8, v20, v8, vcc_lo
	v_cmp_eq_u32_e32 vcc_lo, 0x40f, v23
	v_lshrrev_b32_e32 v20, v24, v25
	s_delay_alu instid0(VALU_DEP_3) | instskip(SKIP_2) | instid1(VALU_DEP_3)
	v_and_b32_e32 v16, 7, v8
	v_cndmask_b32_e32 v14, v21, v14, vcc_lo
	v_lshrrev_b32_e32 v8, 2, v8
	v_cmp_lt_i32_e32 vcc_lo, 5, v16
	s_delay_alu instid0(VALU_DEP_3) | instskip(SKIP_3) | instid1(VALU_DEP_4)
	v_and_or_b32 v0, 0x8000, v15, v14
	v_lshlrev_b32_e32 v14, v24, v20
	v_cmp_eq_u32_e64 s0, 3, v16
	v_add_nc_u32_e32 v16, 0xfffffc10, v26
	v_lshl_or_b32 v6, v0, 16, v6
	s_delay_alu instid0(VALU_DEP_4) | instskip(NEXT) | instid1(VALU_DEP_4)
	v_cmp_ne_u32_e64 s1, v14, v25
	s_or_b32 vcc_lo, s0, vcc_lo
	s_delay_alu instid0(VALU_DEP_3) | instskip(SKIP_1) | instid1(VALU_DEP_3)
	v_lshl_or_b32 v15, v16, 12, v22
	v_add_co_ci_u32_e32 v8, vcc_lo, 0, v8, vcc_lo
	v_cndmask_b32_e64 v14, 0, 1, s1
	v_cmp_ne_u32_e32 vcc_lo, 0, v12
	v_mul_f64 v[10:11], v[10:11], s[8:9]
	v_and_or_b32 v2, 0x1ff, v3, v2
	v_cmp_eq_u32_e64 s1, 0x40f, v18
	v_or_b32_e32 v14, v20, v14
	v_cndmask_b32_e64 v12, 0, 1, vcc_lo
	v_lshrrev_b32_e32 v20, 16, v13
	v_cmp_gt_i32_e32 vcc_lo, 1, v16
	v_lshrrev_b32_e32 v23, 8, v3
	v_bfe_u32 v24, v3, 20, 11
	v_lshl_or_b32 v12, v12, 9, 0x7c00
	v_lshrrev_b32_e32 v3, 16, v3
	v_cndmask_b32_e32 v21, v15, v14, vcc_lo
	v_mul_f16_e32 v14, v94, v20
	v_cmp_gt_i32_e32 vcc_lo, 31, v18
	s_delay_alu instid0(VALU_DEP_3) | instskip(NEXT) | instid1(VALU_DEP_3)
	v_and_b32_e32 v15, 7, v21
	v_fmac_f16_e32 v14, v84, v13
	v_cndmask_b32_e32 v8, 0x7c00, v8, vcc_lo
	v_cmp_ne_u32_e32 vcc_lo, 0, v2
	v_mul_f16_e32 v13, v94, v13
	v_cmp_eq_u32_e64 s0, 3, v15
	v_cvt_f32_f16_e32 v14, v14
	v_cndmask_b32_e64 v8, v8, v12, s1
	v_cndmask_b32_e64 v2, 0, 1, vcc_lo
	v_cmp_lt_i32_e32 vcc_lo, 5, v15
	v_lshrrev_b32_e32 v12, 2, v21
	v_cvt_f64_f32_e32 v[14:15], v14
	v_and_or_b32 v19, 0x8000, v19, v8
	v_and_or_b32 v2, 0xffe, v23, v2
	s_or_b32 vcc_lo, s0, vcc_lo
	v_sub_nc_u32_e32 v23, 0x3f1, v24
	v_add_co_ci_u32_e32 v12, vcc_lo, 0, v12, vcc_lo
	v_cmp_ne_u32_e32 vcc_lo, 0, v22
	v_or_b32_e32 v18, 0x1000, v2
	s_delay_alu instid0(VALU_DEP_4) | instskip(SKIP_3) | instid1(VALU_DEP_4)
	v_med3_i32 v21, v23, 0, 13
	v_and_or_b32 v10, 0x1ff, v11, v10
	v_cndmask_b32_e64 v22, 0, 1, vcc_lo
	v_cmp_gt_i32_e32 vcc_lo, 31, v16
	v_lshrrev_b32_e32 v23, v21, v18
	s_delay_alu instid0(VALU_DEP_3) | instskip(SKIP_2) | instid1(VALU_DEP_4)
	v_lshl_or_b32 v22, v22, 9, 0x7c00
	v_cndmask_b32_e32 v12, 0x7c00, v12, vcc_lo
	v_cmp_eq_u32_e32 vcc_lo, 0x40f, v16
	v_lshlrev_b32_e32 v8, v21, v23
	v_bfe_u32 v21, v11, 20, 11
	s_delay_alu instid0(VALU_DEP_4) | instskip(SKIP_1) | instid1(VALU_DEP_4)
	v_cndmask_b32_e32 v16, v12, v22, vcc_lo
	v_fma_f16 v12, v84, v20, -v13
	v_cmp_ne_u32_e32 vcc_lo, v8, v18
	v_add_nc_u32_e32 v20, 0xfffffc10, v24
	v_lshrrev_b32_e32 v18, 8, v11
	v_lshrrev_b32_e32 v11, 16, v11
	v_cvt_f32_f16_e32 v12, v12
	v_cndmask_b32_e64 v8, 0, 1, vcc_lo
	v_cmp_ne_u32_e32 vcc_lo, 0, v10
	v_lshl_or_b32 v22, v20, 12, v2
	s_delay_alu instid0(VALU_DEP_4) | instskip(NEXT) | instid1(VALU_DEP_4)
	v_cvt_f64_f32_e32 v[12:13], v12
	v_or_b32_e32 v8, v23, v8
	v_cndmask_b32_e64 v10, 0, 1, vcc_lo
	v_cmp_gt_i32_e32 vcc_lo, 1, v20
	v_lshrrev_b32_e32 v23, 16, v9
	s_delay_alu instid0(VALU_DEP_3)
	v_and_or_b32 v10, 0xffe, v18, v10
	v_sub_nc_u32_e32 v18, 0x3f1, v21
	v_cndmask_b32_e32 v22, v22, v8, vcc_lo
	v_mul_f64 v[8:9], v[14:15], s[8:9]
	v_and_or_b32 v0, 0x8000, v23, v16
	v_or_b32_e32 v14, 0x1000, v10
	v_med3_i32 v15, v18, 0, 13
	v_and_b32_e32 v16, 0xffff, v19
	v_and_b32_e32 v18, 7, v22
	v_add_co_u32 v4, vcc_lo, v4, s3
	s_delay_alu instid0(VALU_DEP_4) | instskip(NEXT) | instid1(VALU_DEP_4)
	v_lshrrev_b32_e32 v19, v15, v14
	v_lshl_or_b32 v16, v0, 16, v16
	v_add_co_ci_u32_e32 v5, vcc_lo, s2, v5, vcc_lo
	v_cmp_lt_i32_e32 vcc_lo, 5, v18
	s_delay_alu instid0(VALU_DEP_4)
	v_lshlrev_b32_e32 v0, v15, v19
	v_cmp_eq_u32_e64 s0, 3, v18
	v_lshrrev_b32_e32 v15, 2, v22
	v_lshrrev_b32_e32 v23, 16, v1
	v_add_nc_u32_e32 v21, 0xfffffc10, v21
	v_cmp_ne_u32_e64 s1, v0, v14
	s_or_b32 vcc_lo, s0, vcc_lo
	v_add_co_ci_u32_e32 v15, vcc_lo, 0, v15, vcc_lo
	s_delay_alu instid0(VALU_DEP_2) | instskip(SKIP_3) | instid1(VALU_DEP_4)
	v_cndmask_b32_e64 v0, 0, 1, s1
	v_mul_f16_e32 v14, v91, v23
	v_cmp_ne_u32_e32 vcc_lo, 0, v2
	v_lshl_or_b32 v18, v21, 12, v10
	v_or_b32_e32 v0, v19, v0
	s_delay_alu instid0(VALU_DEP_4) | instskip(SKIP_3) | instid1(VALU_DEP_4)
	v_fmac_f16_e32 v14, v83, v1
	v_cndmask_b32_e64 v2, 0, 1, vcc_lo
	v_mul_f64 v[12:13], v[12:13], s[8:9]
	v_cmp_gt_i32_e32 vcc_lo, 1, v21
	v_cvt_f32_f16_e32 v14, v14
	s_delay_alu instid0(VALU_DEP_4) | instskip(SKIP_3) | instid1(VALU_DEP_3)
	v_lshl_or_b32 v2, v2, 9, 0x7c00
	v_cndmask_b32_e32 v0, v18, v0, vcc_lo
	v_cmp_gt_i32_e32 vcc_lo, 31, v20
	v_and_or_b32 v8, 0x1ff, v9, v8
	v_and_b32_e32 v24, 7, v0
	v_cndmask_b32_e32 v22, 0x7c00, v15, vcc_lo
	v_cvt_f64_f32_e32 v[14:15], v14
	v_add_co_u32 v18, vcc_lo, v4, s3
	v_add_co_ci_u32_e32 v19, vcc_lo, s2, v5, vcc_lo
	v_cmp_eq_u32_e32 vcc_lo, 0x40f, v20
	v_cmp_ne_u32_e64 s0, 0, v8
	v_lshrrev_b32_e32 v0, 2, v0
	v_lshrrev_b32_e32 v20, 8, v9
	global_store_b32 v[4:5], v6, off
	global_store_b32 v[18:19], v16, off
	v_cndmask_b32_e32 v2, v22, v2, vcc_lo
	v_cmp_lt_i32_e32 vcc_lo, 5, v24
	v_cndmask_b32_e64 v8, 0, 1, s0
	v_cmp_eq_u32_e64 s0, 3, v24
	v_bfe_u32 v22, v9, 20, 11
	v_and_or_b32 v25, 0x8000, v3, v2
	v_lshrrev_b32_e32 v9, 16, v9
	v_and_or_b32 v8, 0xffe, v20, v8
	s_or_b32 vcc_lo, s0, vcc_lo
	v_sub_nc_u32_e32 v20, 0x3f1, v22
	v_add_co_ci_u32_e32 v0, vcc_lo, 0, v0, vcc_lo
	v_cmp_ne_u32_e32 vcc_lo, 0, v10
	v_or_b32_e32 v24, 0x1000, v8
	s_delay_alu instid0(VALU_DEP_4)
	v_med3_i32 v20, v20, 0, 13
	v_and_or_b32 v3, 0x1ff, v13, v12
	v_bfe_u32 v26, v13, 20, 11
	v_cndmask_b32_e64 v10, 0, 1, vcc_lo
	v_cmp_gt_i32_e32 vcc_lo, 31, v21
	v_lshrrev_b32_e32 v2, v20, v24
	s_delay_alu instid0(VALU_DEP_3) | instskip(SKIP_2) | instid1(VALU_DEP_4)
	v_lshl_or_b32 v10, v10, 9, 0x7c00
	v_cndmask_b32_e32 v0, 0x7c00, v0, vcc_lo
	v_cmp_eq_u32_e32 vcc_lo, 0x40f, v21
	v_lshlrev_b32_e32 v12, v20, v2
	v_mul_f16_e32 v20, v91, v1
	v_lshrrev_b32_e32 v21, 8, v13
	v_cndmask_b32_e32 v10, v0, v10, vcc_lo
	v_cmp_ne_u32_e32 vcc_lo, 0, v3
	v_mul_f64 v[0:1], v[14:15], s[8:9]
	v_fma_f16 v14, v83, v23, -v20
	v_add_nc_u32_e32 v15, 0xfffffc10, v22
	v_and_or_b32 v10, 0x8000, v11, v10
	v_cndmask_b32_e64 v3, 0, 1, vcc_lo
	v_cmp_ne_u32_e32 vcc_lo, v12, v24
	v_and_b32_e32 v11, 0xffff, v25
	v_cmp_eq_u32_e64 s1, 0x40f, v15
	s_delay_alu instid0(VALU_DEP_4)
	v_and_or_b32 v20, 0xffe, v21, v3
	v_cndmask_b32_e64 v12, 0, 1, vcc_lo
	v_cvt_f32_f16_e32 v3, v14
	v_sub_nc_u32_e32 v14, 0x3f1, v26
	v_lshl_or_b32 v21, v15, 12, v8
	v_or_b32_e32 v22, 0x1000, v20
	v_or_b32_e32 v12, v2, v12
	v_cmp_gt_i32_e32 vcc_lo, 1, v15
	v_med3_i32 v14, v14, 0, 13
	v_cvt_f64_f32_e32 v[2:3], v3
	v_lshl_or_b32 v16, v10, 16, v11
	v_cndmask_b32_e32 v12, v21, v12, vcc_lo
	s_delay_alu instid0(VALU_DEP_4) | instskip(SKIP_2) | instid1(VALU_DEP_3)
	v_lshrrev_b32_e32 v21, v14, v22
	v_add_co_u32 v4, vcc_lo, v18, s3
	v_add_co_ci_u32_e32 v5, vcc_lo, s2, v19, vcc_lo
	v_lshlrev_b32_e32 v10, v14, v21
	v_and_b32_e32 v6, 7, v12
	v_lshrrev_b32_e32 v14, 16, v7
	v_add_nc_u32_e32 v18, 0xfffffc10, v26
	s_delay_alu instid0(VALU_DEP_4) | instskip(NEXT) | instid1(VALU_DEP_4)
	v_cmp_ne_u32_e64 s0, v10, v22
	v_cmp_lt_i32_e32 vcc_lo, 5, v6
	s_delay_alu instid0(VALU_DEP_4) | instskip(NEXT) | instid1(VALU_DEP_3)
	v_mul_f16_e32 v11, v89, v14
	v_cndmask_b32_e64 v10, 0, 1, s0
	v_cmp_eq_u32_e64 s0, 3, v6
	v_lshrrev_b32_e32 v6, 2, v12
	v_lshl_or_b32 v12, v18, 12, v20
	v_and_or_b32 v0, 0x1ff, v1, v0
	v_or_b32_e32 v10, v21, v10
	s_or_b32 vcc_lo, s0, vcc_lo
	v_fmac_f16_e32 v11, v82, v7
	v_add_co_ci_u32_e32 v6, vcc_lo, 0, v6, vcc_lo
	v_cmp_gt_i32_e32 vcc_lo, 1, v18
	v_lshrrev_b32_e32 v19, 8, v1
	s_delay_alu instid0(VALU_DEP_4) | instskip(SKIP_3) | instid1(VALU_DEP_4)
	v_cvt_f32_f16_e32 v11, v11
	v_bfe_u32 v21, v1, 20, 11
	v_cndmask_b32_e32 v12, v12, v10, vcc_lo
	v_cmp_ne_u32_e32 vcc_lo, 0, v0
	v_cvt_f64_f32_e32 v[10:11], v11
	v_mul_f64 v[2:3], v[2:3], s[8:9]
	s_delay_alu instid0(VALU_DEP_4) | instskip(SKIP_3) | instid1(VALU_DEP_4)
	v_and_b32_e32 v22, 7, v12
	v_cndmask_b32_e64 v0, 0, 1, vcc_lo
	v_cmp_ne_u32_e32 vcc_lo, 0, v8
	v_lshrrev_b32_e32 v12, 2, v12
	v_cmp_eq_u32_e64 s0, 3, v22
	s_delay_alu instid0(VALU_DEP_4)
	v_and_or_b32 v0, 0xffe, v19, v0
	v_cndmask_b32_e64 v8, 0, 1, vcc_lo
	v_cmp_gt_i32_e32 vcc_lo, 31, v15
	v_sub_nc_u32_e32 v19, 0x3f1, v21
	v_add_nc_u32_e32 v21, 0xfffffc10, v21
	v_or_b32_e32 v23, 0x1000, v0
	v_lshl_or_b32 v8, v8, 9, 0x7c00
	v_cndmask_b32_e32 v6, 0x7c00, v6, vcc_lo
	v_cmp_lt_i32_e32 vcc_lo, 5, v22
	v_med3_i32 v19, v19, 0, 13
	s_delay_alu instid0(VALU_DEP_3) | instskip(SKIP_1) | instid1(VALU_DEP_2)
	v_cndmask_b32_e64 v6, v6, v8, s1
	s_or_b32 vcc_lo, s0, vcc_lo
	v_lshrrev_b32_e32 v8, v19, v23
	v_add_co_ci_u32_e32 v12, vcc_lo, 0, v12, vcc_lo
	v_cmp_ne_u32_e32 vcc_lo, 0, v20
	v_and_or_b32 v20, 0x8000, v9, v6
	s_delay_alu instid0(VALU_DEP_4) | instskip(SKIP_2) | instid1(VALU_DEP_2)
	v_lshlrev_b32_e32 v19, v19, v8
	v_cndmask_b32_e64 v15, 0, 1, vcc_lo
	v_cmp_gt_i32_e32 vcc_lo, 31, v18
	v_lshl_or_b32 v15, v15, 9, 0x7c00
	v_cndmask_b32_e32 v12, 0x7c00, v12, vcc_lo
	v_cmp_ne_u32_e32 vcc_lo, v19, v23
	v_and_or_b32 v2, 0x1ff, v3, v2
	v_cndmask_b32_e64 v19, 0, 1, vcc_lo
	v_cmp_eq_u32_e32 vcc_lo, 0x40f, v18
	v_and_b32_e32 v18, 0xffff, v20
	s_delay_alu instid0(VALU_DEP_3)
	v_or_b32_e32 v8, v8, v19
	v_cndmask_b32_e32 v9, v12, v15, vcc_lo
	v_mul_f16_e32 v12, v89, v7
	v_mul_f64 v[6:7], v[10:11], s[8:9]
	v_lshl_or_b32 v10, v21, 12, v0
	v_cmp_gt_i32_e32 vcc_lo, 1, v21
	v_lshrrev_b32_e32 v11, 16, v13
	v_fma_f16 v12, v82, v14, -v12
	v_bfe_u32 v13, v3, 20, 11
	v_lshrrev_b32_e32 v15, 16, v17
	v_cndmask_b32_e32 v10, v10, v8, vcc_lo
	v_cmp_ne_u32_e32 vcc_lo, 0, v2
	v_cvt_f32_f16_e32 v8, v12
	v_lshrrev_b32_e32 v12, 8, v3
	v_and_or_b32 v11, 0x8000, v11, v9
	v_and_b32_e32 v14, 7, v10
	v_cndmask_b32_e64 v2, 0, 1, vcc_lo
	v_cvt_f64_f32_e32 v[8:9], v8
	v_lshrrev_b32_e32 v10, 2, v10
	v_mul_f16_e32 v20, v87, v15
	v_cmp_lt_i32_e32 vcc_lo, 5, v14
	v_and_or_b32 v2, 0xffe, v12, v2
	v_sub_nc_u32_e32 v12, 0x3f1, v13
	v_cmp_eq_u32_e64 s0, 3, v14
	v_lshl_or_b32 v14, v11, 16, v18
	v_fmac_f16_e32 v20, v81, v17
	v_or_b32_e32 v19, 0x1000, v2
	v_med3_i32 v12, v12, 0, 13
	s_or_b32 vcc_lo, s0, vcc_lo
	v_add_co_ci_u32_e32 v10, vcc_lo, 0, v10, vcc_lo
	s_delay_alu instid0(VALU_DEP_2) | instskip(SKIP_2) | instid1(VALU_DEP_3)
	v_lshrrev_b32_e32 v18, v12, v19
	v_cmp_ne_u32_e32 vcc_lo, 0, v0
	v_cvt_f32_f16_e32 v11, v20
	v_lshlrev_b32_e32 v12, v12, v18
	v_cndmask_b32_e64 v0, 0, 1, vcc_lo
	v_cmp_gt_i32_e32 vcc_lo, 31, v21
	v_and_or_b32 v6, 0x1ff, v7, v6
	s_delay_alu instid0(VALU_DEP_3)
	v_lshl_or_b32 v0, v0, 9, 0x7c00
	v_cndmask_b32_e32 v20, 0x7c00, v10, vcc_lo
	v_cvt_f64_f32_e32 v[10:11], v11
	v_cmp_ne_u32_e32 vcc_lo, v12, v19
	v_add_nc_u32_e32 v19, 0xfffffc10, v13
	v_mul_f16_e32 v13, v87, v17
	v_lshrrev_b32_e32 v17, 8, v7
	v_cndmask_b32_e64 v12, 0, 1, vcc_lo
	v_cmp_ne_u32_e32 vcc_lo, 0, v6
	s_delay_alu instid0(VALU_DEP_4)
	v_fma_f16 v13, v81, v15, -v13
	v_lshl_or_b32 v15, v19, 12, v2
	v_mul_f64 v[8:9], v[8:9], s[8:9]
	v_or_b32_e32 v12, v18, v12
	v_cndmask_b32_e64 v6, 0, 1, vcc_lo
	v_bfe_u32 v18, v7, 20, 11
	v_cmp_gt_i32_e32 vcc_lo, 1, v19
	v_cvt_f32_f16_e32 v13, v13
	v_lshrrev_b32_e32 v7, 16, v7
	v_and_or_b32 v6, 0xffe, v17, v6
	v_sub_nc_u32_e32 v17, 0x3f1, v18
	v_cndmask_b32_e32 v15, v15, v12, vcc_lo
	v_cmp_eq_u32_e32 vcc_lo, 0x40f, v21
	v_cvt_f64_f32_e32 v[12:13], v13
	v_or_b32_e32 v22, 0x1000, v6
	v_med3_i32 v17, v17, 0, 13
	v_dual_cndmask_b32 v20, v20, v0 :: v_dual_and_b32 v23, 7, v15
	v_add_co_u32 v0, vcc_lo, v4, s3
	s_delay_alu instid0(VALU_DEP_3)
	v_lshrrev_b32_e32 v24, v17, v22
	v_lshrrev_b32_e32 v21, 16, v1
	v_add_co_ci_u32_e32 v1, vcc_lo, s2, v5, vcc_lo
	v_cmp_lt_i32_e32 vcc_lo, 5, v23
	v_cmp_eq_u32_e64 s0, 3, v23
	v_lshrrev_b32_e32 v15, 2, v15
	v_lshlrev_b32_e32 v17, v17, v24
	v_add_nc_u32_e32 v18, 0xfffffc10, v18
	v_and_or_b32 v20, 0x8000, v21, v20
	s_or_b32 vcc_lo, s0, vcc_lo
	v_mul_f64 v[10:11], v[10:11], s[8:9]
	v_add_co_ci_u32_e32 v15, vcc_lo, 0, v15, vcc_lo
	v_cmp_ne_u32_e64 s1, v17, v22
	v_cmp_ne_u32_e32 vcc_lo, 0, v2
	v_lshl_or_b32 v21, v18, 12, v6
	s_delay_alu instid0(VALU_DEP_3)
	v_cndmask_b32_e64 v17, 0, 1, s1
	v_cndmask_b32_e64 v2, 0, 1, vcc_lo
	v_cmp_gt_i32_e32 vcc_lo, 31, v19
	v_and_or_b32 v8, 0x1ff, v9, v8
	v_lshrrev_b32_e32 v22, 8, v9
	v_or_b32_e32 v17, v24, v17
	v_lshl_or_b32 v2, v2, 9, 0x7c00
	v_cndmask_b32_e32 v15, 0x7c00, v15, vcc_lo
	v_cmp_gt_i32_e32 vcc_lo, 1, v18
	s_delay_alu instid0(VALU_DEP_4) | instskip(SKIP_2) | instid1(VALU_DEP_3)
	v_cndmask_b32_e32 v17, v21, v17, vcc_lo
	v_cmp_eq_u32_e32 vcc_lo, 0x40f, v19
	v_lshrrev_b32_e32 v19, 16, v3
	v_and_b32_e32 v21, 7, v17
	v_cndmask_b32_e32 v15, v15, v2, vcc_lo
	v_cmp_ne_u32_e32 vcc_lo, 0, v8
	v_mul_f64 v[2:3], v[12:13], s[8:9]
	v_bfe_u32 v12, v9, 20, 11
	v_cmp_eq_u32_e64 s0, 3, v21
	v_and_or_b32 v13, 0x8000, v19, v15
	v_and_b32_e32 v15, 0xffff, v20
	v_cndmask_b32_e64 v8, 0, 1, vcc_lo
	v_cmp_lt_i32_e32 vcc_lo, 5, v21
	v_sub_nc_u32_e32 v19, 0x3f1, v12
	v_add_nc_u32_e32 v12, 0xfffffc10, v12
	v_lshl_or_b32 v13, v13, 16, v15
	v_lshrrev_b32_e32 v15, 2, v17
	v_and_or_b32 v8, 0xffe, v22, v8
	s_or_b32 vcc_lo, s0, vcc_lo
	v_med3_i32 v19, v19, 0, 13
	v_and_or_b32 v10, 0x1ff, v11, v10
	v_add_co_ci_u32_e32 v15, vcc_lo, 0, v15, vcc_lo
	v_or_b32_e32 v17, 0x1000, v8
	v_cmp_ne_u32_e32 vcc_lo, 0, v6
	v_lshrrev_b32_e32 v21, 8, v11
	v_bfe_u32 v22, v11, 20, 11
	v_lshrrev_b32_e32 v9, 16, v9
	v_lshrrev_b32_e32 v20, v19, v17
	v_cndmask_b32_e64 v6, 0, 1, vcc_lo
	v_cmp_gt_i32_e32 vcc_lo, 31, v18
	v_lshrrev_b32_e32 v11, 16, v11
	s_delay_alu instid0(VALU_DEP_4) | instskip(NEXT) | instid1(VALU_DEP_4)
	v_lshlrev_b32_e32 v19, v19, v20
	v_lshl_or_b32 v6, v6, 9, 0x7c00
	v_cndmask_b32_e32 v15, 0x7c00, v15, vcc_lo
	v_cmp_ne_u32_e32 vcc_lo, 0, v10
	v_cndmask_b32_e64 v10, 0, 1, vcc_lo
	v_cmp_ne_u32_e32 vcc_lo, v19, v17
	v_sub_nc_u32_e32 v19, 0x3f1, v22
	v_and_or_b32 v2, 0x1ff, v3, v2
	s_delay_alu instid0(VALU_DEP_4)
	v_and_or_b32 v10, 0xffe, v21, v10
	v_cndmask_b32_e64 v17, 0, 1, vcc_lo
	v_cmp_eq_u32_e32 vcc_lo, 0x40f, v18
	v_med3_i32 v19, v19, 0, 13
	v_bfe_u32 v21, v3, 20, 11
	v_or_b32_e32 v18, 0x1000, v10
	v_cndmask_b32_e32 v6, v15, v6, vcc_lo
	v_or_b32_e32 v15, v20, v17
	v_lshl_or_b32 v17, v12, 12, v8
	v_cmp_gt_i32_e32 vcc_lo, 1, v12
	v_lshrrev_b32_e32 v20, 8, v3
	v_and_or_b32 v6, 0x8000, v7, v6
	v_sub_nc_u32_e32 v7, 0x3f1, v21
	v_cndmask_b32_e32 v15, v17, v15, vcc_lo
	v_lshrrev_b32_e32 v17, v19, v18
	v_cmp_ne_u32_e32 vcc_lo, 0, v2
	s_delay_alu instid0(VALU_DEP_4)
	v_med3_i32 v7, v7, 0, 13
	v_and_b32_e32 v6, 0xffff, v6
	v_and_b32_e32 v23, 7, v15
	v_lshlrev_b32_e32 v19, v19, v17
	v_cndmask_b32_e64 v2, 0, 1, vcc_lo
	v_lshrrev_b32_e32 v15, 2, v15
	s_delay_alu instid0(VALU_DEP_4) | instskip(NEXT) | instid1(VALU_DEP_4)
	v_cmp_lt_i32_e32 vcc_lo, 5, v23
	v_cmp_ne_u32_e64 s0, v19, v18
	s_delay_alu instid0(VALU_DEP_4) | instskip(SKIP_1) | instid1(VALU_DEP_3)
	v_and_or_b32 v2, 0xffe, v20, v2
	v_add_nc_u32_e32 v20, 0xfffffc10, v22
	v_cndmask_b32_e64 v18, 0, 1, s0
	v_cmp_eq_u32_e64 s0, 3, v23
	s_delay_alu instid0(VALU_DEP_4) | instskip(NEXT) | instid1(VALU_DEP_4)
	v_or_b32_e32 v19, 0x1000, v2
	v_lshl_or_b32 v22, v20, 12, v10
	s_delay_alu instid0(VALU_DEP_4) | instskip(NEXT) | instid1(VALU_DEP_4)
	v_or_b32_e32 v17, v17, v18
	s_or_b32 vcc_lo, s0, vcc_lo
	s_delay_alu instid0(VALU_DEP_3) | instskip(SKIP_2) | instid1(VALU_DEP_3)
	v_lshrrev_b32_e32 v18, v7, v19
	v_add_co_ci_u32_e32 v15, vcc_lo, 0, v15, vcc_lo
	v_cmp_gt_i32_e32 vcc_lo, 1, v20
	v_lshlrev_b32_e32 v7, v7, v18
	v_cndmask_b32_e32 v17, v22, v17, vcc_lo
	v_cmp_ne_u32_e32 vcc_lo, 0, v8
	v_cndmask_b32_e64 v8, 0, 1, vcc_lo
	s_delay_alu instid0(VALU_DEP_4) | instskip(SKIP_2) | instid1(VALU_DEP_4)
	v_cmp_ne_u32_e32 vcc_lo, v7, v19
	v_add_nc_u32_e32 v19, 0xfffffc10, v21
	v_and_b32_e32 v21, 7, v17
	v_lshl_or_b32 v8, v8, 9, 0x7c00
	v_cndmask_b32_e64 v7, 0, 1, vcc_lo
	v_cmp_gt_i32_e32 vcc_lo, 31, v12
	v_cmp_gt_i32_e64 s1, 1, v19
	v_cmp_eq_u32_e64 s0, 3, v21
	s_delay_alu instid0(VALU_DEP_4) | instskip(SKIP_3) | instid1(VALU_DEP_3)
	v_or_b32_e32 v7, v18, v7
	v_lshl_or_b32 v18, v19, 12, v2
	v_cndmask_b32_e32 v15, 0x7c00, v15, vcc_lo
	v_cmp_lt_i32_e32 vcc_lo, 5, v21
	v_cndmask_b32_e64 v7, v18, v7, s1
	v_cmp_eq_u32_e64 s1, 0x40f, v12
	v_lshrrev_b32_e32 v12, 2, v17
	s_or_b32 vcc_lo, s0, vcc_lo
	s_delay_alu instid0(VALU_DEP_2) | instskip(NEXT) | instid1(VALU_DEP_2)
	v_cndmask_b32_e64 v8, v15, v8, s1
	v_add_co_ci_u32_e32 v12, vcc_lo, 0, v12, vcc_lo
	v_and_b32_e32 v15, 7, v7
	v_cmp_ne_u32_e32 vcc_lo, 0, v10
	v_lshrrev_b32_e32 v7, 2, v7
	v_cmp_gt_i32_e64 s1, 31, v20
	v_and_or_b32 v8, 0x8000, v9, v8
	v_cmp_eq_u32_e64 s0, 3, v15
	v_cndmask_b32_e64 v10, 0, 1, vcc_lo
	v_cmp_lt_i32_e32 vcc_lo, 5, v15
	v_cndmask_b32_e64 v12, 0x7c00, v12, s1
	s_delay_alu instid0(VALU_DEP_3)
	v_lshl_or_b32 v10, v10, 9, 0x7c00
	s_or_b32 vcc_lo, s0, vcc_lo
	v_add_co_ci_u32_e32 v7, vcc_lo, 0, v7, vcc_lo
	v_cmp_ne_u32_e32 vcc_lo, 0, v2
	v_cndmask_b32_e64 v2, 0, 1, vcc_lo
	v_cmp_eq_u32_e32 vcc_lo, 0x40f, v20
	s_delay_alu instid0(VALU_DEP_2) | instskip(SKIP_2) | instid1(VALU_DEP_2)
	v_lshl_or_b32 v2, v2, 9, 0x7c00
	v_cndmask_b32_e32 v10, v12, v10, vcc_lo
	v_cmp_gt_i32_e32 vcc_lo, 31, v19
	v_and_or_b32 v9, 0x8000, v11, v10
	v_cndmask_b32_e32 v7, 0x7c00, v7, vcc_lo
	v_cmp_eq_u32_e32 vcc_lo, 0x40f, v19
	v_lshrrev_b32_e32 v10, 16, v3
	v_lshl_or_b32 v11, v8, 16, v6
	v_and_b32_e32 v9, 0xffff, v9
	v_cndmask_b32_e32 v7, v7, v2, vcc_lo
	v_add_co_u32 v2, vcc_lo, v0, s3
	v_add_co_ci_u32_e32 v3, vcc_lo, s2, v1, vcc_lo
	s_delay_alu instid0(VALU_DEP_3) | instskip(NEXT) | instid1(VALU_DEP_3)
	v_and_or_b32 v8, 0x8000, v10, v7
	v_add_co_u32 v6, vcc_lo, v2, s3
	s_delay_alu instid0(VALU_DEP_3) | instskip(NEXT) | instid1(VALU_DEP_3)
	v_add_co_ci_u32_e32 v7, vcc_lo, s2, v3, vcc_lo
	v_lshl_or_b32 v10, v8, 16, v9
	s_delay_alu instid0(VALU_DEP_3) | instskip(NEXT) | instid1(VALU_DEP_3)
	v_add_co_u32 v8, vcc_lo, v6, s3
	v_add_co_ci_u32_e32 v9, vcc_lo, s2, v7, vcc_lo
	global_store_b32 v[4:5], v16, off
	global_store_b32 v[0:1], v14, off
	;; [unrolled: 1-line block ×5, first 2 shown]
.LBB0_10:
	s_nop 0
	s_sendmsg sendmsg(MSG_DEALLOC_VGPRS)
	s_endpgm
	.section	.rodata,"a",@progbits
	.p2align	6, 0x0
	.amdhsa_kernel bluestein_single_back_len480_dim1_half_op_CI_CI
		.amdhsa_group_segment_fixed_size 7680
		.amdhsa_private_segment_fixed_size 0
		.amdhsa_kernarg_size 104
		.amdhsa_user_sgpr_count 15
		.amdhsa_user_sgpr_dispatch_ptr 0
		.amdhsa_user_sgpr_queue_ptr 0
		.amdhsa_user_sgpr_kernarg_segment_ptr 1
		.amdhsa_user_sgpr_dispatch_id 0
		.amdhsa_user_sgpr_private_segment_size 0
		.amdhsa_wavefront_size32 1
		.amdhsa_uses_dynamic_stack 0
		.amdhsa_enable_private_segment 0
		.amdhsa_system_sgpr_workgroup_id_x 1
		.amdhsa_system_sgpr_workgroup_id_y 0
		.amdhsa_system_sgpr_workgroup_id_z 0
		.amdhsa_system_sgpr_workgroup_info 0
		.amdhsa_system_vgpr_workitem_id 0
		.amdhsa_next_free_vgpr 246
		.amdhsa_next_free_sgpr 20
		.amdhsa_reserve_vcc 1
		.amdhsa_float_round_mode_32 0
		.amdhsa_float_round_mode_16_64 0
		.amdhsa_float_denorm_mode_32 3
		.amdhsa_float_denorm_mode_16_64 3
		.amdhsa_dx10_clamp 1
		.amdhsa_ieee_mode 1
		.amdhsa_fp16_overflow 0
		.amdhsa_workgroup_processor_mode 1
		.amdhsa_memory_ordered 1
		.amdhsa_forward_progress 0
		.amdhsa_shared_vgpr_count 0
		.amdhsa_exception_fp_ieee_invalid_op 0
		.amdhsa_exception_fp_denorm_src 0
		.amdhsa_exception_fp_ieee_div_zero 0
		.amdhsa_exception_fp_ieee_overflow 0
		.amdhsa_exception_fp_ieee_underflow 0
		.amdhsa_exception_fp_ieee_inexact 0
		.amdhsa_exception_int_div_zero 0
	.end_amdhsa_kernel
	.text
.Lfunc_end0:
	.size	bluestein_single_back_len480_dim1_half_op_CI_CI, .Lfunc_end0-bluestein_single_back_len480_dim1_half_op_CI_CI
                                        ; -- End function
	.section	.AMDGPU.csdata,"",@progbits
; Kernel info:
; codeLenInByte = 42772
; NumSgprs: 22
; NumVgprs: 246
; ScratchSize: 0
; MemoryBound: 0
; FloatMode: 240
; IeeeMode: 1
; LDSByteSize: 7680 bytes/workgroup (compile time only)
; SGPRBlocks: 2
; VGPRBlocks: 30
; NumSGPRsForWavesPerEU: 22
; NumVGPRsForWavesPerEU: 246
; Occupancy: 5
; WaveLimiterHint : 1
; COMPUTE_PGM_RSRC2:SCRATCH_EN: 0
; COMPUTE_PGM_RSRC2:USER_SGPR: 15
; COMPUTE_PGM_RSRC2:TRAP_HANDLER: 0
; COMPUTE_PGM_RSRC2:TGID_X_EN: 1
; COMPUTE_PGM_RSRC2:TGID_Y_EN: 0
; COMPUTE_PGM_RSRC2:TGID_Z_EN: 0
; COMPUTE_PGM_RSRC2:TIDIG_COMP_CNT: 0
	.text
	.p2alignl 7, 3214868480
	.fill 96, 4, 3214868480
	.type	__hip_cuid_3731ddae756f6bb,@object ; @__hip_cuid_3731ddae756f6bb
	.section	.bss,"aw",@nobits
	.globl	__hip_cuid_3731ddae756f6bb
__hip_cuid_3731ddae756f6bb:
	.byte	0                               ; 0x0
	.size	__hip_cuid_3731ddae756f6bb, 1

	.ident	"AMD clang version 19.0.0git (https://github.com/RadeonOpenCompute/llvm-project roc-6.4.0 25133 c7fe45cf4b819c5991fe208aaa96edf142730f1d)"
	.section	".note.GNU-stack","",@progbits
	.addrsig
	.addrsig_sym __hip_cuid_3731ddae756f6bb
	.amdgpu_metadata
---
amdhsa.kernels:
  - .args:
      - .actual_access:  read_only
        .address_space:  global
        .offset:         0
        .size:           8
        .value_kind:     global_buffer
      - .actual_access:  read_only
        .address_space:  global
        .offset:         8
        .size:           8
        .value_kind:     global_buffer
      - .actual_access:  read_only
        .address_space:  global
        .offset:         16
        .size:           8
        .value_kind:     global_buffer
      - .actual_access:  read_only
        .address_space:  global
        .offset:         24
        .size:           8
        .value_kind:     global_buffer
      - .actual_access:  read_only
        .address_space:  global
        .offset:         32
        .size:           8
        .value_kind:     global_buffer
      - .offset:         40
        .size:           8
        .value_kind:     by_value
      - .address_space:  global
        .offset:         48
        .size:           8
        .value_kind:     global_buffer
      - .address_space:  global
        .offset:         56
        .size:           8
        .value_kind:     global_buffer
      - .address_space:  global
        .offset:         64
        .size:           8
        .value_kind:     global_buffer
      - .address_space:  global
        .offset:         72
        .size:           8
        .value_kind:     global_buffer
      - .offset:         80
        .size:           4
        .value_kind:     by_value
      - .address_space:  global
        .offset:         88
        .size:           8
        .value_kind:     global_buffer
      - .address_space:  global
        .offset:         96
        .size:           8
        .value_kind:     global_buffer
    .group_segment_fixed_size: 7680
    .kernarg_segment_align: 8
    .kernarg_segment_size: 104
    .language:       OpenCL C
    .language_version:
      - 2
      - 0
    .max_flat_workgroup_size: 64
    .name:           bluestein_single_back_len480_dim1_half_op_CI_CI
    .private_segment_fixed_size: 0
    .sgpr_count:     22
    .sgpr_spill_count: 0
    .symbol:         bluestein_single_back_len480_dim1_half_op_CI_CI.kd
    .uniform_work_group_size: 1
    .uses_dynamic_stack: false
    .vgpr_count:     246
    .vgpr_spill_count: 0
    .wavefront_size: 32
    .workgroup_processor_mode: 1
amdhsa.target:   amdgcn-amd-amdhsa--gfx1100
amdhsa.version:
  - 1
  - 2
...

	.end_amdgpu_metadata
